;; amdgpu-corpus repo=ROCm/rocSPARSE kind=compiled arch=gfx1250 opt=O3
	.amdgcn_target "amdgcn-amd-amdhsa--gfx1250"
	.amdhsa_code_object_version 6
	.section	.text._ZN9rocsparseL23csr2csr_compress_kernelILi1024ELi512ELi2ELi32EfEEvii21rocsparse_index_base_PKT3_PKiS6_iS1_PS2_S6_PiNS_24const_host_device_scalarIS2_EEb,"axG",@progbits,_ZN9rocsparseL23csr2csr_compress_kernelILi1024ELi512ELi2ELi32EfEEvii21rocsparse_index_base_PKT3_PKiS6_iS1_PS2_S6_PiNS_24const_host_device_scalarIS2_EEb,comdat
	.globl	_ZN9rocsparseL23csr2csr_compress_kernelILi1024ELi512ELi2ELi32EfEEvii21rocsparse_index_base_PKT3_PKiS6_iS1_PS2_S6_PiNS_24const_host_device_scalarIS2_EEb ; -- Begin function _ZN9rocsparseL23csr2csr_compress_kernelILi1024ELi512ELi2ELi32EfEEvii21rocsparse_index_base_PKT3_PKiS6_iS1_PS2_S6_PiNS_24const_host_device_scalarIS2_EEb
	.p2align	8
	.type	_ZN9rocsparseL23csr2csr_compress_kernelILi1024ELi512ELi2ELi32EfEEvii21rocsparse_index_base_PKT3_PKiS6_iS1_PS2_S6_PiNS_24const_host_device_scalarIS2_EEb,@function
_ZN9rocsparseL23csr2csr_compress_kernelILi1024ELi512ELi2ELi32EfEEvii21rocsparse_index_base_PKT3_PKiS6_iS1_PS2_S6_PiNS_24const_host_device_scalarIS2_EEb: ; @_ZN9rocsparseL23csr2csr_compress_kernelILi1024ELi512ELi2ELi32EfEEvii21rocsparse_index_base_PKT3_PKiS6_iS1_PS2_S6_PiNS_24const_host_device_scalarIS2_EEb
; %bb.0:
	s_load_b96 s[8:10], s[0:1], 0x48
	s_wait_kmcnt 0x0
	s_bitcmp1_b32 s10, 0
	s_cselect_b32 s2, -1, 0
	s_delay_alu instid0(SALU_CYCLE_1)
	s_and_b32 vcc_lo, exec_lo, s2
	s_cbranch_vccnz .LBB0_2
; %bb.1:
	s_load_b32 s8, s[8:9], 0x0
.LBB0_2:
	s_nop 0
	s_load_b32 s2, s[0:1], 0x0
	s_bfe_u32 s3, ttmp6, 0x4000c
	s_and_b32 s4, ttmp6, 15
	s_add_co_i32 s3, s3, 1
	s_getreg_b32 s5, hwreg(HW_REG_IB_STS2, 6, 4)
	s_mul_i32 s3, ttmp9, s3
	v_lshrrev_b32_e32 v1, 1, v0
	s_add_co_i32 s4, s4, s3
	s_cmp_eq_u32 s5, 0
	s_cselect_b32 s3, ttmp9, s4
	s_delay_alu instid0(VALU_DEP_1) | instid1(SALU_CYCLE_1)
	v_lshl_or_b32 v4, s3, 9, v1
	s_wait_kmcnt 0x0
	s_delay_alu instid0(VALU_DEP_1)
	v_cmp_gt_i32_e32 vcc_lo, s2, v4
	s_and_saveexec_b32 s2, vcc_lo
	s_cbranch_execz .LBB0_8
; %bb.3:
	s_clause 0x1
	s_load_b64 s[2:3], s[0:1], 0x18
	s_load_b32 s9, s[0:1], 0x8
	v_and_b32_e32 v1, 1, v0
	s_wait_kmcnt 0x0
	s_delay_alu instid0(VALU_DEP_1) | instskip(SKIP_1) | instid1(VALU_DEP_1)
	v_subrev_nc_u32_e32 v6, s9, v1
	v_ashrrev_i32_e32 v5, 31, v4
	v_lshl_add_u64 v[2:3], v[4:5], 2, s[2:3]
	global_load_b64 v[2:3], v[2:3], off
	s_wait_loadcnt 0x0
	v_subrev_nc_u32_e32 v8, s9, v3
	v_add_nc_u32_e32 v2, v2, v6
	s_delay_alu instid0(VALU_DEP_1)
	v_cmp_lt_i32_e32 vcc_lo, v2, v8
	s_and_b32 exec_lo, exec_lo, vcc_lo
	s_cbranch_execz .LBB0_8
; %bb.4:
	s_clause 0x1
	s_load_b128 s[4:7], s[0:1], 0x30
	s_load_b64 s[2:3], s[0:1], 0x40
	v_mbcnt_lo_u32_b32 v7, -1, 0
	s_wait_kmcnt 0x0
	v_lshl_add_u64 v[4:5], v[4:5], 2, s[6:7]
	global_load_b32 v3, v[4:5], off
	s_clause 0x2
	s_load_b32 s12, s[0:1], 0x2c
	s_load_b64 s[6:7], s[0:1], 0x10
	s_load_b64 s[10:11], s[0:1], 0x20
	v_not_b32_e32 v4, v1
	v_dual_mov_b32 v1, 0 :: v_dual_bitop2_b32 v5, 30, v0 bitop3:0x40
	s_wait_xcnt 0x0
	s_mov_b32 s1, 0
	s_delay_alu instid0(VALU_DEP_2) | instskip(NEXT) | instid1(VALU_DEP_1)
	v_lshrrev_b32_e64 v0, v4, -1
	v_lshlrev_b64_e32 v[4:5], v5, v[0:1]
	v_lshl_or_b32 v5, v7, 2, 4
	s_wait_kmcnt 0x0
	s_sub_co_i32 s9, s12, s9
	s_wait_loadcnt 0x0
	v_subrev_nc_u32_e32 v6, s12, v3
	s_branch .LBB0_6
.LBB0_5:                                ;   in Loop: Header=BB0_6 Depth=1
	s_wait_xcnt 0x0
	s_or_b32 exec_lo, exec_lo, s0
	ds_bpermute_b32 v0, v5, v0
	v_add_nc_u32_e32 v2, 2, v2
	s_delay_alu instid0(VALU_DEP_1)
	v_cmp_ge_i32_e32 vcc_lo, v2, v8
	s_or_b32 s1, vcc_lo, s1
	s_wait_dscnt 0x0
	v_add_nc_u32_e32 v6, v0, v6
	s_and_not1_b32 exec_lo, exec_lo, s1
	s_cbranch_execz .LBB0_8
.LBB0_6:                                ; =>This Inner Loop Header: Depth=1
	global_load_b32 v9, v2, s[6:7] scale_offset
	v_ashrrev_i32_e32 v3, 31, v2
	s_wait_loadcnt 0x0
	v_cmp_gt_f32_e32 vcc_lo, 0, v9
	v_cndmask_b32_e64 v0, v9, -v9, vcc_lo
	s_delay_alu instid0(VALU_DEP_1) | instskip(SKIP_2) | instid1(SALU_CYCLE_1)
	v_cmp_lt_f32_e32 vcc_lo, s8, v0
	v_cmp_lt_f32_e64 s0, 0x800000, v0
	s_and_b32 s12, vcc_lo, s0
	v_cndmask_b32_e64 v0, 0, 1, s12
	s_delay_alu instid0(VALU_DEP_1) | instskip(SKIP_1) | instid1(VALU_DEP_1)
	v_cmp_ne_u32_e32 vcc_lo, 0, v0
	v_and_b32_e32 v0, vcc_lo, v4
	v_bcnt_u32_b32 v0, v0, 0
	s_wait_xcnt 0x0
	s_and_saveexec_b32 s0, s12
	s_cbranch_execz .LBB0_5
; %bb.7:                                ;   in Loop: Header=BB0_6 Depth=1
	v_lshl_add_u64 v[10:11], v[2:3], 2, s[10:11]
	global_load_b32 v3, v[10:11], off
	s_wait_loadcnt 0x0
	v_dual_ashrrev_i32 v7, 31, v6 :: v_dual_add_nc_u32 v3, s9, v3
	s_wait_xcnt 0x0
	s_delay_alu instid0(VALU_DEP_1) | instskip(NEXT) | instid1(VALU_DEP_1)
	v_add_nc_u64_e32 v[10:11], v[6:7], v[0:1]
	v_lshlrev_b64_e32 v[10:11], 2, v[10:11]
	s_delay_alu instid0(VALU_DEP_1)
	v_add_nc_u64_e32 v[12:13], s[4:5], v[10:11]
	v_add_nc_u64_e32 v[10:11], s[2:3], v[10:11]
	global_store_b32 v[12:13], v9, off offset:-4
	global_store_b32 v[10:11], v3, off offset:-4
	s_branch .LBB0_5
.LBB0_8:
	s_endpgm
	.section	.rodata,"a",@progbits
	.p2align	6, 0x0
	.amdhsa_kernel _ZN9rocsparseL23csr2csr_compress_kernelILi1024ELi512ELi2ELi32EfEEvii21rocsparse_index_base_PKT3_PKiS6_iS1_PS2_S6_PiNS_24const_host_device_scalarIS2_EEb
		.amdhsa_group_segment_fixed_size 0
		.amdhsa_private_segment_fixed_size 0
		.amdhsa_kernarg_size 84
		.amdhsa_user_sgpr_count 2
		.amdhsa_user_sgpr_dispatch_ptr 0
		.amdhsa_user_sgpr_queue_ptr 0
		.amdhsa_user_sgpr_kernarg_segment_ptr 1
		.amdhsa_user_sgpr_dispatch_id 0
		.amdhsa_user_sgpr_kernarg_preload_length 0
		.amdhsa_user_sgpr_kernarg_preload_offset 0
		.amdhsa_user_sgpr_private_segment_size 0
		.amdhsa_wavefront_size32 1
		.amdhsa_uses_dynamic_stack 0
		.amdhsa_enable_private_segment 0
		.amdhsa_system_sgpr_workgroup_id_x 1
		.amdhsa_system_sgpr_workgroup_id_y 0
		.amdhsa_system_sgpr_workgroup_id_z 0
		.amdhsa_system_sgpr_workgroup_info 0
		.amdhsa_system_vgpr_workitem_id 0
		.amdhsa_next_free_vgpr 14
		.amdhsa_next_free_sgpr 13
		.amdhsa_named_barrier_count 0
		.amdhsa_reserve_vcc 1
		.amdhsa_float_round_mode_32 0
		.amdhsa_float_round_mode_16_64 0
		.amdhsa_float_denorm_mode_32 3
		.amdhsa_float_denorm_mode_16_64 3
		.amdhsa_fp16_overflow 0
		.amdhsa_memory_ordered 1
		.amdhsa_forward_progress 1
		.amdhsa_inst_pref_size 5
		.amdhsa_round_robin_scheduling 0
		.amdhsa_exception_fp_ieee_invalid_op 0
		.amdhsa_exception_fp_denorm_src 0
		.amdhsa_exception_fp_ieee_div_zero 0
		.amdhsa_exception_fp_ieee_overflow 0
		.amdhsa_exception_fp_ieee_underflow 0
		.amdhsa_exception_fp_ieee_inexact 0
		.amdhsa_exception_int_div_zero 0
	.end_amdhsa_kernel
	.section	.text._ZN9rocsparseL23csr2csr_compress_kernelILi1024ELi512ELi2ELi32EfEEvii21rocsparse_index_base_PKT3_PKiS6_iS1_PS2_S6_PiNS_24const_host_device_scalarIS2_EEb,"axG",@progbits,_ZN9rocsparseL23csr2csr_compress_kernelILi1024ELi512ELi2ELi32EfEEvii21rocsparse_index_base_PKT3_PKiS6_iS1_PS2_S6_PiNS_24const_host_device_scalarIS2_EEb,comdat
.Lfunc_end0:
	.size	_ZN9rocsparseL23csr2csr_compress_kernelILi1024ELi512ELi2ELi32EfEEvii21rocsparse_index_base_PKT3_PKiS6_iS1_PS2_S6_PiNS_24const_host_device_scalarIS2_EEb, .Lfunc_end0-_ZN9rocsparseL23csr2csr_compress_kernelILi1024ELi512ELi2ELi32EfEEvii21rocsparse_index_base_PKT3_PKiS6_iS1_PS2_S6_PiNS_24const_host_device_scalarIS2_EEb
                                        ; -- End function
	.set _ZN9rocsparseL23csr2csr_compress_kernelILi1024ELi512ELi2ELi32EfEEvii21rocsparse_index_base_PKT3_PKiS6_iS1_PS2_S6_PiNS_24const_host_device_scalarIS2_EEb.num_vgpr, 14
	.set _ZN9rocsparseL23csr2csr_compress_kernelILi1024ELi512ELi2ELi32EfEEvii21rocsparse_index_base_PKT3_PKiS6_iS1_PS2_S6_PiNS_24const_host_device_scalarIS2_EEb.num_agpr, 0
	.set _ZN9rocsparseL23csr2csr_compress_kernelILi1024ELi512ELi2ELi32EfEEvii21rocsparse_index_base_PKT3_PKiS6_iS1_PS2_S6_PiNS_24const_host_device_scalarIS2_EEb.numbered_sgpr, 13
	.set _ZN9rocsparseL23csr2csr_compress_kernelILi1024ELi512ELi2ELi32EfEEvii21rocsparse_index_base_PKT3_PKiS6_iS1_PS2_S6_PiNS_24const_host_device_scalarIS2_EEb.num_named_barrier, 0
	.set _ZN9rocsparseL23csr2csr_compress_kernelILi1024ELi512ELi2ELi32EfEEvii21rocsparse_index_base_PKT3_PKiS6_iS1_PS2_S6_PiNS_24const_host_device_scalarIS2_EEb.private_seg_size, 0
	.set _ZN9rocsparseL23csr2csr_compress_kernelILi1024ELi512ELi2ELi32EfEEvii21rocsparse_index_base_PKT3_PKiS6_iS1_PS2_S6_PiNS_24const_host_device_scalarIS2_EEb.uses_vcc, 1
	.set _ZN9rocsparseL23csr2csr_compress_kernelILi1024ELi512ELi2ELi32EfEEvii21rocsparse_index_base_PKT3_PKiS6_iS1_PS2_S6_PiNS_24const_host_device_scalarIS2_EEb.uses_flat_scratch, 0
	.set _ZN9rocsparseL23csr2csr_compress_kernelILi1024ELi512ELi2ELi32EfEEvii21rocsparse_index_base_PKT3_PKiS6_iS1_PS2_S6_PiNS_24const_host_device_scalarIS2_EEb.has_dyn_sized_stack, 0
	.set _ZN9rocsparseL23csr2csr_compress_kernelILi1024ELi512ELi2ELi32EfEEvii21rocsparse_index_base_PKT3_PKiS6_iS1_PS2_S6_PiNS_24const_host_device_scalarIS2_EEb.has_recursion, 0
	.set _ZN9rocsparseL23csr2csr_compress_kernelILi1024ELi512ELi2ELi32EfEEvii21rocsparse_index_base_PKT3_PKiS6_iS1_PS2_S6_PiNS_24const_host_device_scalarIS2_EEb.has_indirect_call, 0
	.section	.AMDGPU.csdata,"",@progbits
; Kernel info:
; codeLenInByte = 600
; TotalNumSgprs: 15
; NumVgprs: 14
; ScratchSize: 0
; MemoryBound: 0
; FloatMode: 240
; IeeeMode: 1
; LDSByteSize: 0 bytes/workgroup (compile time only)
; SGPRBlocks: 0
; VGPRBlocks: 0
; NumSGPRsForWavesPerEU: 15
; NumVGPRsForWavesPerEU: 14
; NamedBarCnt: 0
; Occupancy: 16
; WaveLimiterHint : 0
; COMPUTE_PGM_RSRC2:SCRATCH_EN: 0
; COMPUTE_PGM_RSRC2:USER_SGPR: 2
; COMPUTE_PGM_RSRC2:TRAP_HANDLER: 0
; COMPUTE_PGM_RSRC2:TGID_X_EN: 1
; COMPUTE_PGM_RSRC2:TGID_Y_EN: 0
; COMPUTE_PGM_RSRC2:TGID_Z_EN: 0
; COMPUTE_PGM_RSRC2:TIDIG_COMP_CNT: 0
	.section	.text._ZN9rocsparseL23csr2csr_compress_kernelILi1024ELi256ELi4ELi32EfEEvii21rocsparse_index_base_PKT3_PKiS6_iS1_PS2_S6_PiNS_24const_host_device_scalarIS2_EEb,"axG",@progbits,_ZN9rocsparseL23csr2csr_compress_kernelILi1024ELi256ELi4ELi32EfEEvii21rocsparse_index_base_PKT3_PKiS6_iS1_PS2_S6_PiNS_24const_host_device_scalarIS2_EEb,comdat
	.globl	_ZN9rocsparseL23csr2csr_compress_kernelILi1024ELi256ELi4ELi32EfEEvii21rocsparse_index_base_PKT3_PKiS6_iS1_PS2_S6_PiNS_24const_host_device_scalarIS2_EEb ; -- Begin function _ZN9rocsparseL23csr2csr_compress_kernelILi1024ELi256ELi4ELi32EfEEvii21rocsparse_index_base_PKT3_PKiS6_iS1_PS2_S6_PiNS_24const_host_device_scalarIS2_EEb
	.p2align	8
	.type	_ZN9rocsparseL23csr2csr_compress_kernelILi1024ELi256ELi4ELi32EfEEvii21rocsparse_index_base_PKT3_PKiS6_iS1_PS2_S6_PiNS_24const_host_device_scalarIS2_EEb,@function
_ZN9rocsparseL23csr2csr_compress_kernelILi1024ELi256ELi4ELi32EfEEvii21rocsparse_index_base_PKT3_PKiS6_iS1_PS2_S6_PiNS_24const_host_device_scalarIS2_EEb: ; @_ZN9rocsparseL23csr2csr_compress_kernelILi1024ELi256ELi4ELi32EfEEvii21rocsparse_index_base_PKT3_PKiS6_iS1_PS2_S6_PiNS_24const_host_device_scalarIS2_EEb
; %bb.0:
	s_load_b96 s[8:10], s[0:1], 0x48
	s_wait_kmcnt 0x0
	s_bitcmp1_b32 s10, 0
	s_cselect_b32 s2, -1, 0
	s_delay_alu instid0(SALU_CYCLE_1)
	s_and_b32 vcc_lo, exec_lo, s2
	s_cbranch_vccnz .LBB1_2
; %bb.1:
	s_load_b32 s8, s[8:9], 0x0
.LBB1_2:
	s_nop 0
	s_load_b32 s2, s[0:1], 0x0
	s_bfe_u32 s3, ttmp6, 0x4000c
	s_and_b32 s4, ttmp6, 15
	s_add_co_i32 s3, s3, 1
	s_getreg_b32 s5, hwreg(HW_REG_IB_STS2, 6, 4)
	s_mul_i32 s3, ttmp9, s3
	v_lshrrev_b32_e32 v1, 2, v0
	s_add_co_i32 s4, s4, s3
	s_cmp_eq_u32 s5, 0
	s_cselect_b32 s3, ttmp9, s4
	s_delay_alu instid0(VALU_DEP_1) | instid1(SALU_CYCLE_1)
	v_lshl_or_b32 v4, s3, 8, v1
	s_wait_kmcnt 0x0
	s_delay_alu instid0(VALU_DEP_1)
	v_cmp_gt_i32_e32 vcc_lo, s2, v4
	s_and_saveexec_b32 s2, vcc_lo
	s_cbranch_execz .LBB1_8
; %bb.3:
	s_clause 0x1
	s_load_b64 s[2:3], s[0:1], 0x18
	s_load_b32 s9, s[0:1], 0x8
	v_and_b32_e32 v1, 3, v0
	s_wait_kmcnt 0x0
	s_delay_alu instid0(VALU_DEP_1) | instskip(SKIP_1) | instid1(VALU_DEP_1)
	v_subrev_nc_u32_e32 v6, s9, v1
	v_ashrrev_i32_e32 v5, 31, v4
	v_lshl_add_u64 v[2:3], v[4:5], 2, s[2:3]
	global_load_b64 v[2:3], v[2:3], off
	s_wait_loadcnt 0x0
	v_subrev_nc_u32_e32 v8, s9, v3
	v_add_nc_u32_e32 v2, v2, v6
	s_delay_alu instid0(VALU_DEP_1)
	v_cmp_lt_i32_e32 vcc_lo, v2, v8
	s_and_b32 exec_lo, exec_lo, vcc_lo
	s_cbranch_execz .LBB1_8
; %bb.4:
	s_clause 0x1
	s_load_b128 s[4:7], s[0:1], 0x30
	s_load_b64 s[2:3], s[0:1], 0x40
	v_mbcnt_lo_u32_b32 v7, -1, 0
	s_wait_kmcnt 0x0
	v_lshl_add_u64 v[4:5], v[4:5], 2, s[6:7]
	global_load_b32 v3, v[4:5], off
	s_clause 0x2
	s_load_b32 s12, s[0:1], 0x2c
	s_load_b64 s[6:7], s[0:1], 0x10
	s_load_b64 s[10:11], s[0:1], 0x20
	v_not_b32_e32 v4, v1
	v_dual_mov_b32 v1, 0 :: v_dual_bitop2_b32 v5, 28, v0 bitop3:0x40
	s_wait_xcnt 0x0
	s_mov_b32 s1, 0
	s_delay_alu instid0(VALU_DEP_2) | instskip(NEXT) | instid1(VALU_DEP_1)
	v_lshrrev_b32_e64 v0, v4, -1
	v_lshlrev_b64_e32 v[4:5], v5, v[0:1]
	v_lshl_or_b32 v5, v7, 2, 12
	s_wait_kmcnt 0x0
	s_sub_co_i32 s9, s12, s9
	s_wait_loadcnt 0x0
	v_subrev_nc_u32_e32 v6, s12, v3
	s_branch .LBB1_6
.LBB1_5:                                ;   in Loop: Header=BB1_6 Depth=1
	s_wait_xcnt 0x0
	s_or_b32 exec_lo, exec_lo, s0
	ds_bpermute_b32 v0, v5, v0
	v_add_nc_u32_e32 v2, 4, v2
	s_delay_alu instid0(VALU_DEP_1)
	v_cmp_ge_i32_e32 vcc_lo, v2, v8
	s_or_b32 s1, vcc_lo, s1
	s_wait_dscnt 0x0
	v_add_nc_u32_e32 v6, v0, v6
	s_and_not1_b32 exec_lo, exec_lo, s1
	s_cbranch_execz .LBB1_8
.LBB1_6:                                ; =>This Inner Loop Header: Depth=1
	global_load_b32 v9, v2, s[6:7] scale_offset
	v_ashrrev_i32_e32 v3, 31, v2
	s_wait_loadcnt 0x0
	v_cmp_gt_f32_e32 vcc_lo, 0, v9
	v_cndmask_b32_e64 v0, v9, -v9, vcc_lo
	s_delay_alu instid0(VALU_DEP_1) | instskip(SKIP_2) | instid1(SALU_CYCLE_1)
	v_cmp_lt_f32_e32 vcc_lo, s8, v0
	v_cmp_lt_f32_e64 s0, 0x800000, v0
	s_and_b32 s12, vcc_lo, s0
	v_cndmask_b32_e64 v0, 0, 1, s12
	s_delay_alu instid0(VALU_DEP_1) | instskip(SKIP_1) | instid1(VALU_DEP_1)
	v_cmp_ne_u32_e32 vcc_lo, 0, v0
	v_and_b32_e32 v0, vcc_lo, v4
	v_bcnt_u32_b32 v0, v0, 0
	s_wait_xcnt 0x0
	s_and_saveexec_b32 s0, s12
	s_cbranch_execz .LBB1_5
; %bb.7:                                ;   in Loop: Header=BB1_6 Depth=1
	v_lshl_add_u64 v[10:11], v[2:3], 2, s[10:11]
	global_load_b32 v3, v[10:11], off
	s_wait_loadcnt 0x0
	v_dual_ashrrev_i32 v7, 31, v6 :: v_dual_add_nc_u32 v3, s9, v3
	s_wait_xcnt 0x0
	s_delay_alu instid0(VALU_DEP_1) | instskip(NEXT) | instid1(VALU_DEP_1)
	v_add_nc_u64_e32 v[10:11], v[6:7], v[0:1]
	v_lshlrev_b64_e32 v[10:11], 2, v[10:11]
	s_delay_alu instid0(VALU_DEP_1)
	v_add_nc_u64_e32 v[12:13], s[4:5], v[10:11]
	v_add_nc_u64_e32 v[10:11], s[2:3], v[10:11]
	global_store_b32 v[12:13], v9, off offset:-4
	global_store_b32 v[10:11], v3, off offset:-4
	s_branch .LBB1_5
.LBB1_8:
	s_endpgm
	.section	.rodata,"a",@progbits
	.p2align	6, 0x0
	.amdhsa_kernel _ZN9rocsparseL23csr2csr_compress_kernelILi1024ELi256ELi4ELi32EfEEvii21rocsparse_index_base_PKT3_PKiS6_iS1_PS2_S6_PiNS_24const_host_device_scalarIS2_EEb
		.amdhsa_group_segment_fixed_size 0
		.amdhsa_private_segment_fixed_size 0
		.amdhsa_kernarg_size 84
		.amdhsa_user_sgpr_count 2
		.amdhsa_user_sgpr_dispatch_ptr 0
		.amdhsa_user_sgpr_queue_ptr 0
		.amdhsa_user_sgpr_kernarg_segment_ptr 1
		.amdhsa_user_sgpr_dispatch_id 0
		.amdhsa_user_sgpr_kernarg_preload_length 0
		.amdhsa_user_sgpr_kernarg_preload_offset 0
		.amdhsa_user_sgpr_private_segment_size 0
		.amdhsa_wavefront_size32 1
		.amdhsa_uses_dynamic_stack 0
		.amdhsa_enable_private_segment 0
		.amdhsa_system_sgpr_workgroup_id_x 1
		.amdhsa_system_sgpr_workgroup_id_y 0
		.amdhsa_system_sgpr_workgroup_id_z 0
		.amdhsa_system_sgpr_workgroup_info 0
		.amdhsa_system_vgpr_workitem_id 0
		.amdhsa_next_free_vgpr 14
		.amdhsa_next_free_sgpr 13
		.amdhsa_named_barrier_count 0
		.amdhsa_reserve_vcc 1
		.amdhsa_float_round_mode_32 0
		.amdhsa_float_round_mode_16_64 0
		.amdhsa_float_denorm_mode_32 3
		.amdhsa_float_denorm_mode_16_64 3
		.amdhsa_fp16_overflow 0
		.amdhsa_memory_ordered 1
		.amdhsa_forward_progress 1
		.amdhsa_inst_pref_size 5
		.amdhsa_round_robin_scheduling 0
		.amdhsa_exception_fp_ieee_invalid_op 0
		.amdhsa_exception_fp_denorm_src 0
		.amdhsa_exception_fp_ieee_div_zero 0
		.amdhsa_exception_fp_ieee_overflow 0
		.amdhsa_exception_fp_ieee_underflow 0
		.amdhsa_exception_fp_ieee_inexact 0
		.amdhsa_exception_int_div_zero 0
	.end_amdhsa_kernel
	.section	.text._ZN9rocsparseL23csr2csr_compress_kernelILi1024ELi256ELi4ELi32EfEEvii21rocsparse_index_base_PKT3_PKiS6_iS1_PS2_S6_PiNS_24const_host_device_scalarIS2_EEb,"axG",@progbits,_ZN9rocsparseL23csr2csr_compress_kernelILi1024ELi256ELi4ELi32EfEEvii21rocsparse_index_base_PKT3_PKiS6_iS1_PS2_S6_PiNS_24const_host_device_scalarIS2_EEb,comdat
.Lfunc_end1:
	.size	_ZN9rocsparseL23csr2csr_compress_kernelILi1024ELi256ELi4ELi32EfEEvii21rocsparse_index_base_PKT3_PKiS6_iS1_PS2_S6_PiNS_24const_host_device_scalarIS2_EEb, .Lfunc_end1-_ZN9rocsparseL23csr2csr_compress_kernelILi1024ELi256ELi4ELi32EfEEvii21rocsparse_index_base_PKT3_PKiS6_iS1_PS2_S6_PiNS_24const_host_device_scalarIS2_EEb
                                        ; -- End function
	.set _ZN9rocsparseL23csr2csr_compress_kernelILi1024ELi256ELi4ELi32EfEEvii21rocsparse_index_base_PKT3_PKiS6_iS1_PS2_S6_PiNS_24const_host_device_scalarIS2_EEb.num_vgpr, 14
	.set _ZN9rocsparseL23csr2csr_compress_kernelILi1024ELi256ELi4ELi32EfEEvii21rocsparse_index_base_PKT3_PKiS6_iS1_PS2_S6_PiNS_24const_host_device_scalarIS2_EEb.num_agpr, 0
	.set _ZN9rocsparseL23csr2csr_compress_kernelILi1024ELi256ELi4ELi32EfEEvii21rocsparse_index_base_PKT3_PKiS6_iS1_PS2_S6_PiNS_24const_host_device_scalarIS2_EEb.numbered_sgpr, 13
	.set _ZN9rocsparseL23csr2csr_compress_kernelILi1024ELi256ELi4ELi32EfEEvii21rocsparse_index_base_PKT3_PKiS6_iS1_PS2_S6_PiNS_24const_host_device_scalarIS2_EEb.num_named_barrier, 0
	.set _ZN9rocsparseL23csr2csr_compress_kernelILi1024ELi256ELi4ELi32EfEEvii21rocsparse_index_base_PKT3_PKiS6_iS1_PS2_S6_PiNS_24const_host_device_scalarIS2_EEb.private_seg_size, 0
	.set _ZN9rocsparseL23csr2csr_compress_kernelILi1024ELi256ELi4ELi32EfEEvii21rocsparse_index_base_PKT3_PKiS6_iS1_PS2_S6_PiNS_24const_host_device_scalarIS2_EEb.uses_vcc, 1
	.set _ZN9rocsparseL23csr2csr_compress_kernelILi1024ELi256ELi4ELi32EfEEvii21rocsparse_index_base_PKT3_PKiS6_iS1_PS2_S6_PiNS_24const_host_device_scalarIS2_EEb.uses_flat_scratch, 0
	.set _ZN9rocsparseL23csr2csr_compress_kernelILi1024ELi256ELi4ELi32EfEEvii21rocsparse_index_base_PKT3_PKiS6_iS1_PS2_S6_PiNS_24const_host_device_scalarIS2_EEb.has_dyn_sized_stack, 0
	.set _ZN9rocsparseL23csr2csr_compress_kernelILi1024ELi256ELi4ELi32EfEEvii21rocsparse_index_base_PKT3_PKiS6_iS1_PS2_S6_PiNS_24const_host_device_scalarIS2_EEb.has_recursion, 0
	.set _ZN9rocsparseL23csr2csr_compress_kernelILi1024ELi256ELi4ELi32EfEEvii21rocsparse_index_base_PKT3_PKiS6_iS1_PS2_S6_PiNS_24const_host_device_scalarIS2_EEb.has_indirect_call, 0
	.section	.AMDGPU.csdata,"",@progbits
; Kernel info:
; codeLenInByte = 600
; TotalNumSgprs: 15
; NumVgprs: 14
; ScratchSize: 0
; MemoryBound: 0
; FloatMode: 240
; IeeeMode: 1
; LDSByteSize: 0 bytes/workgroup (compile time only)
; SGPRBlocks: 0
; VGPRBlocks: 0
; NumSGPRsForWavesPerEU: 15
; NumVGPRsForWavesPerEU: 14
; NamedBarCnt: 0
; Occupancy: 16
; WaveLimiterHint : 0
; COMPUTE_PGM_RSRC2:SCRATCH_EN: 0
; COMPUTE_PGM_RSRC2:USER_SGPR: 2
; COMPUTE_PGM_RSRC2:TRAP_HANDLER: 0
; COMPUTE_PGM_RSRC2:TGID_X_EN: 1
; COMPUTE_PGM_RSRC2:TGID_Y_EN: 0
; COMPUTE_PGM_RSRC2:TGID_Z_EN: 0
; COMPUTE_PGM_RSRC2:TIDIG_COMP_CNT: 0
	.section	.text._ZN9rocsparseL23csr2csr_compress_kernelILi1024ELi128ELi8ELi32EfEEvii21rocsparse_index_base_PKT3_PKiS6_iS1_PS2_S6_PiNS_24const_host_device_scalarIS2_EEb,"axG",@progbits,_ZN9rocsparseL23csr2csr_compress_kernelILi1024ELi128ELi8ELi32EfEEvii21rocsparse_index_base_PKT3_PKiS6_iS1_PS2_S6_PiNS_24const_host_device_scalarIS2_EEb,comdat
	.globl	_ZN9rocsparseL23csr2csr_compress_kernelILi1024ELi128ELi8ELi32EfEEvii21rocsparse_index_base_PKT3_PKiS6_iS1_PS2_S6_PiNS_24const_host_device_scalarIS2_EEb ; -- Begin function _ZN9rocsparseL23csr2csr_compress_kernelILi1024ELi128ELi8ELi32EfEEvii21rocsparse_index_base_PKT3_PKiS6_iS1_PS2_S6_PiNS_24const_host_device_scalarIS2_EEb
	.p2align	8
	.type	_ZN9rocsparseL23csr2csr_compress_kernelILi1024ELi128ELi8ELi32EfEEvii21rocsparse_index_base_PKT3_PKiS6_iS1_PS2_S6_PiNS_24const_host_device_scalarIS2_EEb,@function
_ZN9rocsparseL23csr2csr_compress_kernelILi1024ELi128ELi8ELi32EfEEvii21rocsparse_index_base_PKT3_PKiS6_iS1_PS2_S6_PiNS_24const_host_device_scalarIS2_EEb: ; @_ZN9rocsparseL23csr2csr_compress_kernelILi1024ELi128ELi8ELi32EfEEvii21rocsparse_index_base_PKT3_PKiS6_iS1_PS2_S6_PiNS_24const_host_device_scalarIS2_EEb
; %bb.0:
	s_load_b96 s[8:10], s[0:1], 0x48
	s_wait_kmcnt 0x0
	s_bitcmp1_b32 s10, 0
	s_cselect_b32 s2, -1, 0
	s_delay_alu instid0(SALU_CYCLE_1)
	s_and_b32 vcc_lo, exec_lo, s2
	s_cbranch_vccnz .LBB2_2
; %bb.1:
	s_load_b32 s8, s[8:9], 0x0
.LBB2_2:
	s_nop 0
	s_load_b32 s2, s[0:1], 0x0
	s_bfe_u32 s3, ttmp6, 0x4000c
	s_and_b32 s4, ttmp6, 15
	s_add_co_i32 s3, s3, 1
	s_getreg_b32 s5, hwreg(HW_REG_IB_STS2, 6, 4)
	s_mul_i32 s3, ttmp9, s3
	v_lshrrev_b32_e32 v1, 3, v0
	s_add_co_i32 s4, s4, s3
	s_cmp_eq_u32 s5, 0
	s_cselect_b32 s3, ttmp9, s4
	s_delay_alu instid0(VALU_DEP_1) | instid1(SALU_CYCLE_1)
	v_lshl_or_b32 v4, s3, 7, v1
	s_wait_kmcnt 0x0
	s_delay_alu instid0(VALU_DEP_1)
	v_cmp_gt_i32_e32 vcc_lo, s2, v4
	s_and_saveexec_b32 s2, vcc_lo
	s_cbranch_execz .LBB2_8
; %bb.3:
	s_clause 0x1
	s_load_b64 s[2:3], s[0:1], 0x18
	s_load_b32 s9, s[0:1], 0x8
	v_and_b32_e32 v1, 7, v0
	s_wait_kmcnt 0x0
	s_delay_alu instid0(VALU_DEP_1) | instskip(SKIP_1) | instid1(VALU_DEP_1)
	v_subrev_nc_u32_e32 v6, s9, v1
	v_ashrrev_i32_e32 v5, 31, v4
	v_lshl_add_u64 v[2:3], v[4:5], 2, s[2:3]
	global_load_b64 v[2:3], v[2:3], off
	s_wait_loadcnt 0x0
	v_subrev_nc_u32_e32 v8, s9, v3
	v_add_nc_u32_e32 v2, v2, v6
	s_delay_alu instid0(VALU_DEP_1)
	v_cmp_lt_i32_e32 vcc_lo, v2, v8
	s_and_b32 exec_lo, exec_lo, vcc_lo
	s_cbranch_execz .LBB2_8
; %bb.4:
	s_clause 0x1
	s_load_b128 s[4:7], s[0:1], 0x30
	s_load_b64 s[2:3], s[0:1], 0x40
	v_mbcnt_lo_u32_b32 v7, -1, 0
	s_wait_kmcnt 0x0
	v_lshl_add_u64 v[4:5], v[4:5], 2, s[6:7]
	global_load_b32 v3, v[4:5], off
	s_clause 0x2
	s_load_b32 s12, s[0:1], 0x2c
	s_load_b64 s[6:7], s[0:1], 0x10
	s_load_b64 s[10:11], s[0:1], 0x20
	v_not_b32_e32 v4, v1
	v_dual_mov_b32 v1, 0 :: v_dual_bitop2_b32 v5, 24, v0 bitop3:0x40
	s_wait_xcnt 0x0
	s_mov_b32 s1, 0
	s_delay_alu instid0(VALU_DEP_2) | instskip(NEXT) | instid1(VALU_DEP_1)
	v_lshrrev_b32_e64 v0, v4, -1
	v_lshlrev_b64_e32 v[4:5], v5, v[0:1]
	v_lshl_or_b32 v5, v7, 2, 28
	s_wait_kmcnt 0x0
	s_sub_co_i32 s9, s12, s9
	s_wait_loadcnt 0x0
	v_subrev_nc_u32_e32 v6, s12, v3
	s_branch .LBB2_6
.LBB2_5:                                ;   in Loop: Header=BB2_6 Depth=1
	s_wait_xcnt 0x0
	s_or_b32 exec_lo, exec_lo, s0
	ds_bpermute_b32 v0, v5, v0
	v_add_nc_u32_e32 v2, 8, v2
	s_delay_alu instid0(VALU_DEP_1)
	v_cmp_ge_i32_e32 vcc_lo, v2, v8
	s_or_b32 s1, vcc_lo, s1
	s_wait_dscnt 0x0
	v_add_nc_u32_e32 v6, v0, v6
	s_and_not1_b32 exec_lo, exec_lo, s1
	s_cbranch_execz .LBB2_8
.LBB2_6:                                ; =>This Inner Loop Header: Depth=1
	global_load_b32 v9, v2, s[6:7] scale_offset
	v_ashrrev_i32_e32 v3, 31, v2
	s_wait_loadcnt 0x0
	v_cmp_gt_f32_e32 vcc_lo, 0, v9
	v_cndmask_b32_e64 v0, v9, -v9, vcc_lo
	s_delay_alu instid0(VALU_DEP_1) | instskip(SKIP_2) | instid1(SALU_CYCLE_1)
	v_cmp_lt_f32_e32 vcc_lo, s8, v0
	v_cmp_lt_f32_e64 s0, 0x800000, v0
	s_and_b32 s12, vcc_lo, s0
	v_cndmask_b32_e64 v0, 0, 1, s12
	s_delay_alu instid0(VALU_DEP_1) | instskip(SKIP_1) | instid1(VALU_DEP_1)
	v_cmp_ne_u32_e32 vcc_lo, 0, v0
	v_and_b32_e32 v0, vcc_lo, v4
	v_bcnt_u32_b32 v0, v0, 0
	s_wait_xcnt 0x0
	s_and_saveexec_b32 s0, s12
	s_cbranch_execz .LBB2_5
; %bb.7:                                ;   in Loop: Header=BB2_6 Depth=1
	v_lshl_add_u64 v[10:11], v[2:3], 2, s[10:11]
	global_load_b32 v3, v[10:11], off
	s_wait_loadcnt 0x0
	v_dual_ashrrev_i32 v7, 31, v6 :: v_dual_add_nc_u32 v3, s9, v3
	s_wait_xcnt 0x0
	s_delay_alu instid0(VALU_DEP_1) | instskip(NEXT) | instid1(VALU_DEP_1)
	v_add_nc_u64_e32 v[10:11], v[6:7], v[0:1]
	v_lshlrev_b64_e32 v[10:11], 2, v[10:11]
	s_delay_alu instid0(VALU_DEP_1)
	v_add_nc_u64_e32 v[12:13], s[4:5], v[10:11]
	v_add_nc_u64_e32 v[10:11], s[2:3], v[10:11]
	global_store_b32 v[12:13], v9, off offset:-4
	global_store_b32 v[10:11], v3, off offset:-4
	s_branch .LBB2_5
.LBB2_8:
	s_endpgm
	.section	.rodata,"a",@progbits
	.p2align	6, 0x0
	.amdhsa_kernel _ZN9rocsparseL23csr2csr_compress_kernelILi1024ELi128ELi8ELi32EfEEvii21rocsparse_index_base_PKT3_PKiS6_iS1_PS2_S6_PiNS_24const_host_device_scalarIS2_EEb
		.amdhsa_group_segment_fixed_size 0
		.amdhsa_private_segment_fixed_size 0
		.amdhsa_kernarg_size 84
		.amdhsa_user_sgpr_count 2
		.amdhsa_user_sgpr_dispatch_ptr 0
		.amdhsa_user_sgpr_queue_ptr 0
		.amdhsa_user_sgpr_kernarg_segment_ptr 1
		.amdhsa_user_sgpr_dispatch_id 0
		.amdhsa_user_sgpr_kernarg_preload_length 0
		.amdhsa_user_sgpr_kernarg_preload_offset 0
		.amdhsa_user_sgpr_private_segment_size 0
		.amdhsa_wavefront_size32 1
		.amdhsa_uses_dynamic_stack 0
		.amdhsa_enable_private_segment 0
		.amdhsa_system_sgpr_workgroup_id_x 1
		.amdhsa_system_sgpr_workgroup_id_y 0
		.amdhsa_system_sgpr_workgroup_id_z 0
		.amdhsa_system_sgpr_workgroup_info 0
		.amdhsa_system_vgpr_workitem_id 0
		.amdhsa_next_free_vgpr 14
		.amdhsa_next_free_sgpr 13
		.amdhsa_named_barrier_count 0
		.amdhsa_reserve_vcc 1
		.amdhsa_float_round_mode_32 0
		.amdhsa_float_round_mode_16_64 0
		.amdhsa_float_denorm_mode_32 3
		.amdhsa_float_denorm_mode_16_64 3
		.amdhsa_fp16_overflow 0
		.amdhsa_memory_ordered 1
		.amdhsa_forward_progress 1
		.amdhsa_inst_pref_size 5
		.amdhsa_round_robin_scheduling 0
		.amdhsa_exception_fp_ieee_invalid_op 0
		.amdhsa_exception_fp_denorm_src 0
		.amdhsa_exception_fp_ieee_div_zero 0
		.amdhsa_exception_fp_ieee_overflow 0
		.amdhsa_exception_fp_ieee_underflow 0
		.amdhsa_exception_fp_ieee_inexact 0
		.amdhsa_exception_int_div_zero 0
	.end_amdhsa_kernel
	.section	.text._ZN9rocsparseL23csr2csr_compress_kernelILi1024ELi128ELi8ELi32EfEEvii21rocsparse_index_base_PKT3_PKiS6_iS1_PS2_S6_PiNS_24const_host_device_scalarIS2_EEb,"axG",@progbits,_ZN9rocsparseL23csr2csr_compress_kernelILi1024ELi128ELi8ELi32EfEEvii21rocsparse_index_base_PKT3_PKiS6_iS1_PS2_S6_PiNS_24const_host_device_scalarIS2_EEb,comdat
.Lfunc_end2:
	.size	_ZN9rocsparseL23csr2csr_compress_kernelILi1024ELi128ELi8ELi32EfEEvii21rocsparse_index_base_PKT3_PKiS6_iS1_PS2_S6_PiNS_24const_host_device_scalarIS2_EEb, .Lfunc_end2-_ZN9rocsparseL23csr2csr_compress_kernelILi1024ELi128ELi8ELi32EfEEvii21rocsparse_index_base_PKT3_PKiS6_iS1_PS2_S6_PiNS_24const_host_device_scalarIS2_EEb
                                        ; -- End function
	.set _ZN9rocsparseL23csr2csr_compress_kernelILi1024ELi128ELi8ELi32EfEEvii21rocsparse_index_base_PKT3_PKiS6_iS1_PS2_S6_PiNS_24const_host_device_scalarIS2_EEb.num_vgpr, 14
	.set _ZN9rocsparseL23csr2csr_compress_kernelILi1024ELi128ELi8ELi32EfEEvii21rocsparse_index_base_PKT3_PKiS6_iS1_PS2_S6_PiNS_24const_host_device_scalarIS2_EEb.num_agpr, 0
	.set _ZN9rocsparseL23csr2csr_compress_kernelILi1024ELi128ELi8ELi32EfEEvii21rocsparse_index_base_PKT3_PKiS6_iS1_PS2_S6_PiNS_24const_host_device_scalarIS2_EEb.numbered_sgpr, 13
	.set _ZN9rocsparseL23csr2csr_compress_kernelILi1024ELi128ELi8ELi32EfEEvii21rocsparse_index_base_PKT3_PKiS6_iS1_PS2_S6_PiNS_24const_host_device_scalarIS2_EEb.num_named_barrier, 0
	.set _ZN9rocsparseL23csr2csr_compress_kernelILi1024ELi128ELi8ELi32EfEEvii21rocsparse_index_base_PKT3_PKiS6_iS1_PS2_S6_PiNS_24const_host_device_scalarIS2_EEb.private_seg_size, 0
	.set _ZN9rocsparseL23csr2csr_compress_kernelILi1024ELi128ELi8ELi32EfEEvii21rocsparse_index_base_PKT3_PKiS6_iS1_PS2_S6_PiNS_24const_host_device_scalarIS2_EEb.uses_vcc, 1
	.set _ZN9rocsparseL23csr2csr_compress_kernelILi1024ELi128ELi8ELi32EfEEvii21rocsparse_index_base_PKT3_PKiS6_iS1_PS2_S6_PiNS_24const_host_device_scalarIS2_EEb.uses_flat_scratch, 0
	.set _ZN9rocsparseL23csr2csr_compress_kernelILi1024ELi128ELi8ELi32EfEEvii21rocsparse_index_base_PKT3_PKiS6_iS1_PS2_S6_PiNS_24const_host_device_scalarIS2_EEb.has_dyn_sized_stack, 0
	.set _ZN9rocsparseL23csr2csr_compress_kernelILi1024ELi128ELi8ELi32EfEEvii21rocsparse_index_base_PKT3_PKiS6_iS1_PS2_S6_PiNS_24const_host_device_scalarIS2_EEb.has_recursion, 0
	.set _ZN9rocsparseL23csr2csr_compress_kernelILi1024ELi128ELi8ELi32EfEEvii21rocsparse_index_base_PKT3_PKiS6_iS1_PS2_S6_PiNS_24const_host_device_scalarIS2_EEb.has_indirect_call, 0
	.section	.AMDGPU.csdata,"",@progbits
; Kernel info:
; codeLenInByte = 600
; TotalNumSgprs: 15
; NumVgprs: 14
; ScratchSize: 0
; MemoryBound: 0
; FloatMode: 240
; IeeeMode: 1
; LDSByteSize: 0 bytes/workgroup (compile time only)
; SGPRBlocks: 0
; VGPRBlocks: 0
; NumSGPRsForWavesPerEU: 15
; NumVGPRsForWavesPerEU: 14
; NamedBarCnt: 0
; Occupancy: 16
; WaveLimiterHint : 0
; COMPUTE_PGM_RSRC2:SCRATCH_EN: 0
; COMPUTE_PGM_RSRC2:USER_SGPR: 2
; COMPUTE_PGM_RSRC2:TRAP_HANDLER: 0
; COMPUTE_PGM_RSRC2:TGID_X_EN: 1
; COMPUTE_PGM_RSRC2:TGID_Y_EN: 0
; COMPUTE_PGM_RSRC2:TGID_Z_EN: 0
; COMPUTE_PGM_RSRC2:TIDIG_COMP_CNT: 0
	.section	.text._ZN9rocsparseL23csr2csr_compress_kernelILi1024ELi64ELi16ELi32EfEEvii21rocsparse_index_base_PKT3_PKiS6_iS1_PS2_S6_PiNS_24const_host_device_scalarIS2_EEb,"axG",@progbits,_ZN9rocsparseL23csr2csr_compress_kernelILi1024ELi64ELi16ELi32EfEEvii21rocsparse_index_base_PKT3_PKiS6_iS1_PS2_S6_PiNS_24const_host_device_scalarIS2_EEb,comdat
	.globl	_ZN9rocsparseL23csr2csr_compress_kernelILi1024ELi64ELi16ELi32EfEEvii21rocsparse_index_base_PKT3_PKiS6_iS1_PS2_S6_PiNS_24const_host_device_scalarIS2_EEb ; -- Begin function _ZN9rocsparseL23csr2csr_compress_kernelILi1024ELi64ELi16ELi32EfEEvii21rocsparse_index_base_PKT3_PKiS6_iS1_PS2_S6_PiNS_24const_host_device_scalarIS2_EEb
	.p2align	8
	.type	_ZN9rocsparseL23csr2csr_compress_kernelILi1024ELi64ELi16ELi32EfEEvii21rocsparse_index_base_PKT3_PKiS6_iS1_PS2_S6_PiNS_24const_host_device_scalarIS2_EEb,@function
_ZN9rocsparseL23csr2csr_compress_kernelILi1024ELi64ELi16ELi32EfEEvii21rocsparse_index_base_PKT3_PKiS6_iS1_PS2_S6_PiNS_24const_host_device_scalarIS2_EEb: ; @_ZN9rocsparseL23csr2csr_compress_kernelILi1024ELi64ELi16ELi32EfEEvii21rocsparse_index_base_PKT3_PKiS6_iS1_PS2_S6_PiNS_24const_host_device_scalarIS2_EEb
; %bb.0:
	s_load_b96 s[8:10], s[0:1], 0x48
	s_wait_kmcnt 0x0
	s_bitcmp1_b32 s10, 0
	s_cselect_b32 s2, -1, 0
	s_delay_alu instid0(SALU_CYCLE_1)
	s_and_b32 vcc_lo, exec_lo, s2
	s_cbranch_vccnz .LBB3_2
; %bb.1:
	s_load_b32 s8, s[8:9], 0x0
.LBB3_2:
	s_nop 0
	s_load_b32 s2, s[0:1], 0x0
	s_bfe_u32 s3, ttmp6, 0x4000c
	s_and_b32 s4, ttmp6, 15
	s_add_co_i32 s3, s3, 1
	s_getreg_b32 s5, hwreg(HW_REG_IB_STS2, 6, 4)
	s_mul_i32 s3, ttmp9, s3
	v_lshrrev_b32_e32 v1, 4, v0
	s_add_co_i32 s4, s4, s3
	s_cmp_eq_u32 s5, 0
	s_cselect_b32 s3, ttmp9, s4
	s_delay_alu instid0(VALU_DEP_1) | instid1(SALU_CYCLE_1)
	v_lshl_or_b32 v4, s3, 6, v1
	s_wait_kmcnt 0x0
	s_delay_alu instid0(VALU_DEP_1)
	v_cmp_gt_i32_e32 vcc_lo, s2, v4
	s_and_saveexec_b32 s2, vcc_lo
	s_cbranch_execz .LBB3_8
; %bb.3:
	s_clause 0x1
	s_load_b64 s[2:3], s[0:1], 0x18
	s_load_b32 s9, s[0:1], 0x8
	v_and_b32_e32 v1, 15, v0
	s_wait_kmcnt 0x0
	s_delay_alu instid0(VALU_DEP_1) | instskip(SKIP_1) | instid1(VALU_DEP_1)
	v_subrev_nc_u32_e32 v6, s9, v1
	v_ashrrev_i32_e32 v5, 31, v4
	v_lshl_add_u64 v[2:3], v[4:5], 2, s[2:3]
	global_load_b64 v[2:3], v[2:3], off
	s_wait_loadcnt 0x0
	v_subrev_nc_u32_e32 v8, s9, v3
	v_add_nc_u32_e32 v2, v2, v6
	s_delay_alu instid0(VALU_DEP_1)
	v_cmp_lt_i32_e32 vcc_lo, v2, v8
	s_and_b32 exec_lo, exec_lo, vcc_lo
	s_cbranch_execz .LBB3_8
; %bb.4:
	s_clause 0x1
	s_load_b128 s[4:7], s[0:1], 0x30
	s_load_b64 s[2:3], s[0:1], 0x40
	v_mbcnt_lo_u32_b32 v7, -1, 0
	s_wait_kmcnt 0x0
	v_lshl_add_u64 v[4:5], v[4:5], 2, s[6:7]
	global_load_b32 v3, v[4:5], off
	s_clause 0x2
	s_load_b32 s12, s[0:1], 0x2c
	s_load_b64 s[6:7], s[0:1], 0x10
	s_load_b64 s[10:11], s[0:1], 0x20
	v_not_b32_e32 v4, v1
	v_dual_mov_b32 v1, 0 :: v_dual_bitop2_b32 v5, 16, v0 bitop3:0x40
	s_wait_xcnt 0x0
	s_mov_b32 s1, 0
	s_delay_alu instid0(VALU_DEP_2) | instskip(NEXT) | instid1(VALU_DEP_1)
	v_lshrrev_b32_e64 v0, v4, -1
	v_lshlrev_b64_e32 v[4:5], v5, v[0:1]
	v_lshl_or_b32 v5, v7, 2, 60
	s_wait_kmcnt 0x0
	s_sub_co_i32 s9, s12, s9
	s_wait_loadcnt 0x0
	v_subrev_nc_u32_e32 v6, s12, v3
	s_branch .LBB3_6
.LBB3_5:                                ;   in Loop: Header=BB3_6 Depth=1
	s_wait_xcnt 0x0
	s_or_b32 exec_lo, exec_lo, s0
	ds_bpermute_b32 v0, v5, v0
	v_add_nc_u32_e32 v2, 16, v2
	s_delay_alu instid0(VALU_DEP_1)
	v_cmp_ge_i32_e32 vcc_lo, v2, v8
	s_or_b32 s1, vcc_lo, s1
	s_wait_dscnt 0x0
	v_add_nc_u32_e32 v6, v0, v6
	s_and_not1_b32 exec_lo, exec_lo, s1
	s_cbranch_execz .LBB3_8
.LBB3_6:                                ; =>This Inner Loop Header: Depth=1
	global_load_b32 v9, v2, s[6:7] scale_offset
	v_ashrrev_i32_e32 v3, 31, v2
	s_wait_loadcnt 0x0
	v_cmp_gt_f32_e32 vcc_lo, 0, v9
	v_cndmask_b32_e64 v0, v9, -v9, vcc_lo
	s_delay_alu instid0(VALU_DEP_1) | instskip(SKIP_2) | instid1(SALU_CYCLE_1)
	v_cmp_lt_f32_e32 vcc_lo, s8, v0
	v_cmp_lt_f32_e64 s0, 0x800000, v0
	s_and_b32 s12, vcc_lo, s0
	v_cndmask_b32_e64 v0, 0, 1, s12
	s_delay_alu instid0(VALU_DEP_1) | instskip(SKIP_1) | instid1(VALU_DEP_1)
	v_cmp_ne_u32_e32 vcc_lo, 0, v0
	v_and_b32_e32 v0, vcc_lo, v4
	v_bcnt_u32_b32 v0, v0, 0
	s_wait_xcnt 0x0
	s_and_saveexec_b32 s0, s12
	s_cbranch_execz .LBB3_5
; %bb.7:                                ;   in Loop: Header=BB3_6 Depth=1
	v_lshl_add_u64 v[10:11], v[2:3], 2, s[10:11]
	global_load_b32 v3, v[10:11], off
	s_wait_loadcnt 0x0
	v_dual_ashrrev_i32 v7, 31, v6 :: v_dual_add_nc_u32 v3, s9, v3
	s_wait_xcnt 0x0
	s_delay_alu instid0(VALU_DEP_1) | instskip(NEXT) | instid1(VALU_DEP_1)
	v_add_nc_u64_e32 v[10:11], v[6:7], v[0:1]
	v_lshlrev_b64_e32 v[10:11], 2, v[10:11]
	s_delay_alu instid0(VALU_DEP_1)
	v_add_nc_u64_e32 v[12:13], s[4:5], v[10:11]
	v_add_nc_u64_e32 v[10:11], s[2:3], v[10:11]
	global_store_b32 v[12:13], v9, off offset:-4
	global_store_b32 v[10:11], v3, off offset:-4
	s_branch .LBB3_5
.LBB3_8:
	s_endpgm
	.section	.rodata,"a",@progbits
	.p2align	6, 0x0
	.amdhsa_kernel _ZN9rocsparseL23csr2csr_compress_kernelILi1024ELi64ELi16ELi32EfEEvii21rocsparse_index_base_PKT3_PKiS6_iS1_PS2_S6_PiNS_24const_host_device_scalarIS2_EEb
		.amdhsa_group_segment_fixed_size 0
		.amdhsa_private_segment_fixed_size 0
		.amdhsa_kernarg_size 84
		.amdhsa_user_sgpr_count 2
		.amdhsa_user_sgpr_dispatch_ptr 0
		.amdhsa_user_sgpr_queue_ptr 0
		.amdhsa_user_sgpr_kernarg_segment_ptr 1
		.amdhsa_user_sgpr_dispatch_id 0
		.amdhsa_user_sgpr_kernarg_preload_length 0
		.amdhsa_user_sgpr_kernarg_preload_offset 0
		.amdhsa_user_sgpr_private_segment_size 0
		.amdhsa_wavefront_size32 1
		.amdhsa_uses_dynamic_stack 0
		.amdhsa_enable_private_segment 0
		.amdhsa_system_sgpr_workgroup_id_x 1
		.amdhsa_system_sgpr_workgroup_id_y 0
		.amdhsa_system_sgpr_workgroup_id_z 0
		.amdhsa_system_sgpr_workgroup_info 0
		.amdhsa_system_vgpr_workitem_id 0
		.amdhsa_next_free_vgpr 14
		.amdhsa_next_free_sgpr 13
		.amdhsa_named_barrier_count 0
		.amdhsa_reserve_vcc 1
		.amdhsa_float_round_mode_32 0
		.amdhsa_float_round_mode_16_64 0
		.amdhsa_float_denorm_mode_32 3
		.amdhsa_float_denorm_mode_16_64 3
		.amdhsa_fp16_overflow 0
		.amdhsa_memory_ordered 1
		.amdhsa_forward_progress 1
		.amdhsa_inst_pref_size 5
		.amdhsa_round_robin_scheduling 0
		.amdhsa_exception_fp_ieee_invalid_op 0
		.amdhsa_exception_fp_denorm_src 0
		.amdhsa_exception_fp_ieee_div_zero 0
		.amdhsa_exception_fp_ieee_overflow 0
		.amdhsa_exception_fp_ieee_underflow 0
		.amdhsa_exception_fp_ieee_inexact 0
		.amdhsa_exception_int_div_zero 0
	.end_amdhsa_kernel
	.section	.text._ZN9rocsparseL23csr2csr_compress_kernelILi1024ELi64ELi16ELi32EfEEvii21rocsparse_index_base_PKT3_PKiS6_iS1_PS2_S6_PiNS_24const_host_device_scalarIS2_EEb,"axG",@progbits,_ZN9rocsparseL23csr2csr_compress_kernelILi1024ELi64ELi16ELi32EfEEvii21rocsparse_index_base_PKT3_PKiS6_iS1_PS2_S6_PiNS_24const_host_device_scalarIS2_EEb,comdat
.Lfunc_end3:
	.size	_ZN9rocsparseL23csr2csr_compress_kernelILi1024ELi64ELi16ELi32EfEEvii21rocsparse_index_base_PKT3_PKiS6_iS1_PS2_S6_PiNS_24const_host_device_scalarIS2_EEb, .Lfunc_end3-_ZN9rocsparseL23csr2csr_compress_kernelILi1024ELi64ELi16ELi32EfEEvii21rocsparse_index_base_PKT3_PKiS6_iS1_PS2_S6_PiNS_24const_host_device_scalarIS2_EEb
                                        ; -- End function
	.set _ZN9rocsparseL23csr2csr_compress_kernelILi1024ELi64ELi16ELi32EfEEvii21rocsparse_index_base_PKT3_PKiS6_iS1_PS2_S6_PiNS_24const_host_device_scalarIS2_EEb.num_vgpr, 14
	.set _ZN9rocsparseL23csr2csr_compress_kernelILi1024ELi64ELi16ELi32EfEEvii21rocsparse_index_base_PKT3_PKiS6_iS1_PS2_S6_PiNS_24const_host_device_scalarIS2_EEb.num_agpr, 0
	.set _ZN9rocsparseL23csr2csr_compress_kernelILi1024ELi64ELi16ELi32EfEEvii21rocsparse_index_base_PKT3_PKiS6_iS1_PS2_S6_PiNS_24const_host_device_scalarIS2_EEb.numbered_sgpr, 13
	.set _ZN9rocsparseL23csr2csr_compress_kernelILi1024ELi64ELi16ELi32EfEEvii21rocsparse_index_base_PKT3_PKiS6_iS1_PS2_S6_PiNS_24const_host_device_scalarIS2_EEb.num_named_barrier, 0
	.set _ZN9rocsparseL23csr2csr_compress_kernelILi1024ELi64ELi16ELi32EfEEvii21rocsparse_index_base_PKT3_PKiS6_iS1_PS2_S6_PiNS_24const_host_device_scalarIS2_EEb.private_seg_size, 0
	.set _ZN9rocsparseL23csr2csr_compress_kernelILi1024ELi64ELi16ELi32EfEEvii21rocsparse_index_base_PKT3_PKiS6_iS1_PS2_S6_PiNS_24const_host_device_scalarIS2_EEb.uses_vcc, 1
	.set _ZN9rocsparseL23csr2csr_compress_kernelILi1024ELi64ELi16ELi32EfEEvii21rocsparse_index_base_PKT3_PKiS6_iS1_PS2_S6_PiNS_24const_host_device_scalarIS2_EEb.uses_flat_scratch, 0
	.set _ZN9rocsparseL23csr2csr_compress_kernelILi1024ELi64ELi16ELi32EfEEvii21rocsparse_index_base_PKT3_PKiS6_iS1_PS2_S6_PiNS_24const_host_device_scalarIS2_EEb.has_dyn_sized_stack, 0
	.set _ZN9rocsparseL23csr2csr_compress_kernelILi1024ELi64ELi16ELi32EfEEvii21rocsparse_index_base_PKT3_PKiS6_iS1_PS2_S6_PiNS_24const_host_device_scalarIS2_EEb.has_recursion, 0
	.set _ZN9rocsparseL23csr2csr_compress_kernelILi1024ELi64ELi16ELi32EfEEvii21rocsparse_index_base_PKT3_PKiS6_iS1_PS2_S6_PiNS_24const_host_device_scalarIS2_EEb.has_indirect_call, 0
	.section	.AMDGPU.csdata,"",@progbits
; Kernel info:
; codeLenInByte = 600
; TotalNumSgprs: 15
; NumVgprs: 14
; ScratchSize: 0
; MemoryBound: 0
; FloatMode: 240
; IeeeMode: 1
; LDSByteSize: 0 bytes/workgroup (compile time only)
; SGPRBlocks: 0
; VGPRBlocks: 0
; NumSGPRsForWavesPerEU: 15
; NumVGPRsForWavesPerEU: 14
; NamedBarCnt: 0
; Occupancy: 16
; WaveLimiterHint : 0
; COMPUTE_PGM_RSRC2:SCRATCH_EN: 0
; COMPUTE_PGM_RSRC2:USER_SGPR: 2
; COMPUTE_PGM_RSRC2:TRAP_HANDLER: 0
; COMPUTE_PGM_RSRC2:TGID_X_EN: 1
; COMPUTE_PGM_RSRC2:TGID_Y_EN: 0
; COMPUTE_PGM_RSRC2:TGID_Z_EN: 0
; COMPUTE_PGM_RSRC2:TIDIG_COMP_CNT: 0
	.section	.text._ZN9rocsparseL23csr2csr_compress_kernelILi1024ELi32ELi32ELi32EfEEvii21rocsparse_index_base_PKT3_PKiS6_iS1_PS2_S6_PiNS_24const_host_device_scalarIS2_EEb,"axG",@progbits,_ZN9rocsparseL23csr2csr_compress_kernelILi1024ELi32ELi32ELi32EfEEvii21rocsparse_index_base_PKT3_PKiS6_iS1_PS2_S6_PiNS_24const_host_device_scalarIS2_EEb,comdat
	.globl	_ZN9rocsparseL23csr2csr_compress_kernelILi1024ELi32ELi32ELi32EfEEvii21rocsparse_index_base_PKT3_PKiS6_iS1_PS2_S6_PiNS_24const_host_device_scalarIS2_EEb ; -- Begin function _ZN9rocsparseL23csr2csr_compress_kernelILi1024ELi32ELi32ELi32EfEEvii21rocsparse_index_base_PKT3_PKiS6_iS1_PS2_S6_PiNS_24const_host_device_scalarIS2_EEb
	.p2align	8
	.type	_ZN9rocsparseL23csr2csr_compress_kernelILi1024ELi32ELi32ELi32EfEEvii21rocsparse_index_base_PKT3_PKiS6_iS1_PS2_S6_PiNS_24const_host_device_scalarIS2_EEb,@function
_ZN9rocsparseL23csr2csr_compress_kernelILi1024ELi32ELi32ELi32EfEEvii21rocsparse_index_base_PKT3_PKiS6_iS1_PS2_S6_PiNS_24const_host_device_scalarIS2_EEb: ; @_ZN9rocsparseL23csr2csr_compress_kernelILi1024ELi32ELi32ELi32EfEEvii21rocsparse_index_base_PKT3_PKiS6_iS1_PS2_S6_PiNS_24const_host_device_scalarIS2_EEb
; %bb.0:
	s_load_b96 s[8:10], s[0:1], 0x48
	s_wait_kmcnt 0x0
	s_bitcmp1_b32 s10, 0
	s_cselect_b32 s2, -1, 0
	s_delay_alu instid0(SALU_CYCLE_1)
	s_and_b32 vcc_lo, exec_lo, s2
	s_cbranch_vccnz .LBB4_2
; %bb.1:
	s_load_b32 s8, s[8:9], 0x0
.LBB4_2:
	s_nop 0
	s_load_b32 s2, s[0:1], 0x0
	s_bfe_u32 s3, ttmp6, 0x4000c
	s_and_b32 s4, ttmp6, 15
	s_add_co_i32 s3, s3, 1
	s_getreg_b32 s5, hwreg(HW_REG_IB_STS2, 6, 4)
	s_mul_i32 s3, ttmp9, s3
	v_lshrrev_b32_e32 v1, 5, v0
	s_add_co_i32 s4, s4, s3
	s_cmp_eq_u32 s5, 0
	s_cselect_b32 s3, ttmp9, s4
	s_delay_alu instid0(VALU_DEP_1) | instid1(SALU_CYCLE_1)
	v_lshl_or_b32 v2, s3, 5, v1
	s_wait_kmcnt 0x0
	s_delay_alu instid0(VALU_DEP_1)
	v_cmp_gt_i32_e32 vcc_lo, s2, v2
	s_and_saveexec_b32 s2, vcc_lo
	s_cbranch_execz .LBB4_8
; %bb.3:
	s_clause 0x1
	s_load_b64 s[2:3], s[0:1], 0x18
	s_load_b32 s9, s[0:1], 0x8
	v_dual_ashrrev_i32 v3, 31, v2 :: v_dual_bitop2_b32 v1, 31, v0 bitop3:0x40
	s_wait_kmcnt 0x0
	s_delay_alu instid0(VALU_DEP_1) | instskip(NEXT) | instid1(VALU_DEP_2)
	v_lshl_add_u64 v[4:5], v[2:3], 2, s[2:3]
	v_subrev_nc_u32_e32 v0, s9, v1
	global_load_b64 v[4:5], v[4:5], off
	s_wait_loadcnt 0x0
	v_subrev_nc_u32_e32 v5, s9, v5
	v_add_nc_u32_e32 v0, v4, v0
	s_delay_alu instid0(VALU_DEP_1)
	v_cmp_lt_i32_e32 vcc_lo, v0, v5
	s_and_b32 exec_lo, exec_lo, vcc_lo
	s_cbranch_execz .LBB4_8
; %bb.4:
	s_clause 0x1
	s_load_b128 s[4:7], s[0:1], 0x30
	s_load_b64 s[2:3], s[0:1], 0x40
	v_xor_b32_e32 v1, 31, v1
	v_mov_b32_e32 v8, 0x7c
	s_wait_kmcnt 0x0
	v_lshl_add_u64 v[2:3], v[2:3], 2, s[6:7]
	global_load_b32 v2, v[2:3], off
	s_clause 0x2
	s_load_b32 s12, s[0:1], 0x2c
	s_load_b64 s[6:7], s[0:1], 0x10
	s_load_b64 s[10:11], s[0:1], 0x20
	v_mov_b32_e32 v3, 0
	v_lshrrev_b32_e64 v4, v1, -1
	s_wait_xcnt 0x0
	s_mov_b32 s1, 0
	s_wait_kmcnt 0x0
	s_sub_co_i32 s9, s12, s9
	s_wait_loadcnt 0x0
	v_subrev_nc_u32_e32 v6, s12, v2
	s_branch .LBB4_6
.LBB4_5:                                ;   in Loop: Header=BB4_6 Depth=1
	s_wait_xcnt 0x0
	s_or_b32 exec_lo, exec_lo, s0
	ds_bpermute_b32 v1, v8, v2
	s_wait_dscnt 0x0
	v_dual_add_nc_u32 v0, 32, v0 :: v_dual_add_nc_u32 v6, v1, v6
	s_delay_alu instid0(VALU_DEP_1) | instskip(SKIP_1) | instid1(SALU_CYCLE_1)
	v_cmp_ge_i32_e32 vcc_lo, v0, v5
	s_or_b32 s1, vcc_lo, s1
	s_and_not1_b32 exec_lo, exec_lo, s1
	s_cbranch_execz .LBB4_8
.LBB4_6:                                ; =>This Inner Loop Header: Depth=1
	global_load_b32 v9, v0, s[6:7] scale_offset
	s_wait_loadcnt 0x0
	v_cmp_gt_f32_e32 vcc_lo, 0, v9
	v_cndmask_b32_e64 v1, v9, -v9, vcc_lo
	s_delay_alu instid0(VALU_DEP_1) | instskip(SKIP_2) | instid1(SALU_CYCLE_1)
	v_cmp_lt_f32_e32 vcc_lo, s8, v1
	v_cmp_lt_f32_e64 s0, 0x800000, v1
	s_and_b32 s12, vcc_lo, s0
	v_cndmask_b32_e64 v1, 0, 1, s12
	s_delay_alu instid0(VALU_DEP_1) | instskip(SKIP_2) | instid1(VALU_DEP_1)
	v_cmp_ne_u32_e32 vcc_lo, 0, v1
	v_ashrrev_i32_e32 v1, 31, v0
	v_and_b32_e32 v2, vcc_lo, v4
	v_bcnt_u32_b32 v2, v2, 0
	s_wait_xcnt 0x0
	s_and_saveexec_b32 s0, s12
	s_cbranch_execz .LBB4_5
; %bb.7:                                ;   in Loop: Header=BB4_6 Depth=1
	v_lshl_add_u64 v[10:11], v[0:1], 2, s[10:11]
	global_load_b32 v1, v[10:11], off
	s_wait_loadcnt 0x0
	v_dual_ashrrev_i32 v7, 31, v6 :: v_dual_add_nc_u32 v1, s9, v1
	s_wait_xcnt 0x0
	s_delay_alu instid0(VALU_DEP_1) | instskip(NEXT) | instid1(VALU_DEP_1)
	v_add_nc_u64_e32 v[10:11], v[6:7], v[2:3]
	v_lshlrev_b64_e32 v[10:11], 2, v[10:11]
	s_delay_alu instid0(VALU_DEP_1)
	v_add_nc_u64_e32 v[12:13], s[4:5], v[10:11]
	v_add_nc_u64_e32 v[10:11], s[2:3], v[10:11]
	global_store_b32 v[12:13], v9, off offset:-4
	global_store_b32 v[10:11], v1, off offset:-4
	s_branch .LBB4_5
.LBB4_8:
	s_endpgm
	.section	.rodata,"a",@progbits
	.p2align	6, 0x0
	.amdhsa_kernel _ZN9rocsparseL23csr2csr_compress_kernelILi1024ELi32ELi32ELi32EfEEvii21rocsparse_index_base_PKT3_PKiS6_iS1_PS2_S6_PiNS_24const_host_device_scalarIS2_EEb
		.amdhsa_group_segment_fixed_size 0
		.amdhsa_private_segment_fixed_size 0
		.amdhsa_kernarg_size 84
		.amdhsa_user_sgpr_count 2
		.amdhsa_user_sgpr_dispatch_ptr 0
		.amdhsa_user_sgpr_queue_ptr 0
		.amdhsa_user_sgpr_kernarg_segment_ptr 1
		.amdhsa_user_sgpr_dispatch_id 0
		.amdhsa_user_sgpr_kernarg_preload_length 0
		.amdhsa_user_sgpr_kernarg_preload_offset 0
		.amdhsa_user_sgpr_private_segment_size 0
		.amdhsa_wavefront_size32 1
		.amdhsa_uses_dynamic_stack 0
		.amdhsa_enable_private_segment 0
		.amdhsa_system_sgpr_workgroup_id_x 1
		.amdhsa_system_sgpr_workgroup_id_y 0
		.amdhsa_system_sgpr_workgroup_id_z 0
		.amdhsa_system_sgpr_workgroup_info 0
		.amdhsa_system_vgpr_workitem_id 0
		.amdhsa_next_free_vgpr 14
		.amdhsa_next_free_sgpr 13
		.amdhsa_named_barrier_count 0
		.amdhsa_reserve_vcc 1
		.amdhsa_float_round_mode_32 0
		.amdhsa_float_round_mode_16_64 0
		.amdhsa_float_denorm_mode_32 3
		.amdhsa_float_denorm_mode_16_64 3
		.amdhsa_fp16_overflow 0
		.amdhsa_memory_ordered 1
		.amdhsa_forward_progress 1
		.amdhsa_inst_pref_size 5
		.amdhsa_round_robin_scheduling 0
		.amdhsa_exception_fp_ieee_invalid_op 0
		.amdhsa_exception_fp_denorm_src 0
		.amdhsa_exception_fp_ieee_div_zero 0
		.amdhsa_exception_fp_ieee_overflow 0
		.amdhsa_exception_fp_ieee_underflow 0
		.amdhsa_exception_fp_ieee_inexact 0
		.amdhsa_exception_int_div_zero 0
	.end_amdhsa_kernel
	.section	.text._ZN9rocsparseL23csr2csr_compress_kernelILi1024ELi32ELi32ELi32EfEEvii21rocsparse_index_base_PKT3_PKiS6_iS1_PS2_S6_PiNS_24const_host_device_scalarIS2_EEb,"axG",@progbits,_ZN9rocsparseL23csr2csr_compress_kernelILi1024ELi32ELi32ELi32EfEEvii21rocsparse_index_base_PKT3_PKiS6_iS1_PS2_S6_PiNS_24const_host_device_scalarIS2_EEb,comdat
.Lfunc_end4:
	.size	_ZN9rocsparseL23csr2csr_compress_kernelILi1024ELi32ELi32ELi32EfEEvii21rocsparse_index_base_PKT3_PKiS6_iS1_PS2_S6_PiNS_24const_host_device_scalarIS2_EEb, .Lfunc_end4-_ZN9rocsparseL23csr2csr_compress_kernelILi1024ELi32ELi32ELi32EfEEvii21rocsparse_index_base_PKT3_PKiS6_iS1_PS2_S6_PiNS_24const_host_device_scalarIS2_EEb
                                        ; -- End function
	.set _ZN9rocsparseL23csr2csr_compress_kernelILi1024ELi32ELi32ELi32EfEEvii21rocsparse_index_base_PKT3_PKiS6_iS1_PS2_S6_PiNS_24const_host_device_scalarIS2_EEb.num_vgpr, 14
	.set _ZN9rocsparseL23csr2csr_compress_kernelILi1024ELi32ELi32ELi32EfEEvii21rocsparse_index_base_PKT3_PKiS6_iS1_PS2_S6_PiNS_24const_host_device_scalarIS2_EEb.num_agpr, 0
	.set _ZN9rocsparseL23csr2csr_compress_kernelILi1024ELi32ELi32ELi32EfEEvii21rocsparse_index_base_PKT3_PKiS6_iS1_PS2_S6_PiNS_24const_host_device_scalarIS2_EEb.numbered_sgpr, 13
	.set _ZN9rocsparseL23csr2csr_compress_kernelILi1024ELi32ELi32ELi32EfEEvii21rocsparse_index_base_PKT3_PKiS6_iS1_PS2_S6_PiNS_24const_host_device_scalarIS2_EEb.num_named_barrier, 0
	.set _ZN9rocsparseL23csr2csr_compress_kernelILi1024ELi32ELi32ELi32EfEEvii21rocsparse_index_base_PKT3_PKiS6_iS1_PS2_S6_PiNS_24const_host_device_scalarIS2_EEb.private_seg_size, 0
	.set _ZN9rocsparseL23csr2csr_compress_kernelILi1024ELi32ELi32ELi32EfEEvii21rocsparse_index_base_PKT3_PKiS6_iS1_PS2_S6_PiNS_24const_host_device_scalarIS2_EEb.uses_vcc, 1
	.set _ZN9rocsparseL23csr2csr_compress_kernelILi1024ELi32ELi32ELi32EfEEvii21rocsparse_index_base_PKT3_PKiS6_iS1_PS2_S6_PiNS_24const_host_device_scalarIS2_EEb.uses_flat_scratch, 0
	.set _ZN9rocsparseL23csr2csr_compress_kernelILi1024ELi32ELi32ELi32EfEEvii21rocsparse_index_base_PKT3_PKiS6_iS1_PS2_S6_PiNS_24const_host_device_scalarIS2_EEb.has_dyn_sized_stack, 0
	.set _ZN9rocsparseL23csr2csr_compress_kernelILi1024ELi32ELi32ELi32EfEEvii21rocsparse_index_base_PKT3_PKiS6_iS1_PS2_S6_PiNS_24const_host_device_scalarIS2_EEb.has_recursion, 0
	.set _ZN9rocsparseL23csr2csr_compress_kernelILi1024ELi32ELi32ELi32EfEEvii21rocsparse_index_base_PKT3_PKiS6_iS1_PS2_S6_PiNS_24const_host_device_scalarIS2_EEb.has_indirect_call, 0
	.section	.AMDGPU.csdata,"",@progbits
; Kernel info:
; codeLenInByte = 584
; TotalNumSgprs: 15
; NumVgprs: 14
; ScratchSize: 0
; MemoryBound: 0
; FloatMode: 240
; IeeeMode: 1
; LDSByteSize: 0 bytes/workgroup (compile time only)
; SGPRBlocks: 0
; VGPRBlocks: 0
; NumSGPRsForWavesPerEU: 15
; NumVGPRsForWavesPerEU: 14
; NamedBarCnt: 0
; Occupancy: 16
; WaveLimiterHint : 0
; COMPUTE_PGM_RSRC2:SCRATCH_EN: 0
; COMPUTE_PGM_RSRC2:USER_SGPR: 2
; COMPUTE_PGM_RSRC2:TRAP_HANDLER: 0
; COMPUTE_PGM_RSRC2:TGID_X_EN: 1
; COMPUTE_PGM_RSRC2:TGID_Y_EN: 0
; COMPUTE_PGM_RSRC2:TGID_Z_EN: 0
; COMPUTE_PGM_RSRC2:TIDIG_COMP_CNT: 0
	.section	.text._ZN9rocsparseL23csr2csr_compress_kernelILi1024ELi512ELi2ELi64EfEEvii21rocsparse_index_base_PKT3_PKiS6_iS1_PS2_S6_PiNS_24const_host_device_scalarIS2_EEb,"axG",@progbits,_ZN9rocsparseL23csr2csr_compress_kernelILi1024ELi512ELi2ELi64EfEEvii21rocsparse_index_base_PKT3_PKiS6_iS1_PS2_S6_PiNS_24const_host_device_scalarIS2_EEb,comdat
	.globl	_ZN9rocsparseL23csr2csr_compress_kernelILi1024ELi512ELi2ELi64EfEEvii21rocsparse_index_base_PKT3_PKiS6_iS1_PS2_S6_PiNS_24const_host_device_scalarIS2_EEb ; -- Begin function _ZN9rocsparseL23csr2csr_compress_kernelILi1024ELi512ELi2ELi64EfEEvii21rocsparse_index_base_PKT3_PKiS6_iS1_PS2_S6_PiNS_24const_host_device_scalarIS2_EEb
	.p2align	8
	.type	_ZN9rocsparseL23csr2csr_compress_kernelILi1024ELi512ELi2ELi64EfEEvii21rocsparse_index_base_PKT3_PKiS6_iS1_PS2_S6_PiNS_24const_host_device_scalarIS2_EEb,@function
_ZN9rocsparseL23csr2csr_compress_kernelILi1024ELi512ELi2ELi64EfEEvii21rocsparse_index_base_PKT3_PKiS6_iS1_PS2_S6_PiNS_24const_host_device_scalarIS2_EEb: ; @_ZN9rocsparseL23csr2csr_compress_kernelILi1024ELi512ELi2ELi64EfEEvii21rocsparse_index_base_PKT3_PKiS6_iS1_PS2_S6_PiNS_24const_host_device_scalarIS2_EEb
; %bb.0:
	s_load_b96 s[8:10], s[0:1], 0x48
	s_wait_kmcnt 0x0
	s_bitcmp1_b32 s10, 0
	s_cselect_b32 s2, -1, 0
	s_delay_alu instid0(SALU_CYCLE_1)
	s_and_b32 vcc_lo, exec_lo, s2
	s_cbranch_vccnz .LBB5_2
; %bb.1:
	s_load_b32 s8, s[8:9], 0x0
.LBB5_2:
	s_nop 0
	s_load_b32 s2, s[0:1], 0x0
	s_bfe_u32 s3, ttmp6, 0x4000c
	s_and_b32 s4, ttmp6, 15
	s_add_co_i32 s3, s3, 1
	s_getreg_b32 s5, hwreg(HW_REG_IB_STS2, 6, 4)
	s_mul_i32 s3, ttmp9, s3
	v_lshrrev_b32_e32 v1, 1, v0
	s_add_co_i32 s4, s4, s3
	s_cmp_eq_u32 s5, 0
	s_cselect_b32 s3, ttmp9, s4
	s_delay_alu instid0(VALU_DEP_1) | instid1(SALU_CYCLE_1)
	v_lshl_or_b32 v4, s3, 9, v1
	s_wait_kmcnt 0x0
	s_delay_alu instid0(VALU_DEP_1)
	v_cmp_gt_i32_e32 vcc_lo, s2, v4
	s_and_saveexec_b32 s2, vcc_lo
	s_cbranch_execz .LBB5_8
; %bb.3:
	s_clause 0x1
	s_load_b64 s[2:3], s[0:1], 0x18
	s_load_b32 s9, s[0:1], 0x8
	v_and_b32_e32 v1, 1, v0
	s_wait_kmcnt 0x0
	s_delay_alu instid0(VALU_DEP_1) | instskip(SKIP_1) | instid1(VALU_DEP_1)
	v_subrev_nc_u32_e32 v6, s9, v1
	v_ashrrev_i32_e32 v5, 31, v4
	v_lshl_add_u64 v[2:3], v[4:5], 2, s[2:3]
	global_load_b64 v[2:3], v[2:3], off
	s_wait_loadcnt 0x0
	v_subrev_nc_u32_e32 v8, s9, v3
	v_add_nc_u32_e32 v2, v2, v6
	s_delay_alu instid0(VALU_DEP_1)
	v_cmp_lt_i32_e32 vcc_lo, v2, v8
	s_and_b32 exec_lo, exec_lo, vcc_lo
	s_cbranch_execz .LBB5_8
; %bb.4:
	s_clause 0x1
	s_load_b128 s[4:7], s[0:1], 0x30
	s_load_b64 s[2:3], s[0:1], 0x40
	v_mbcnt_lo_u32_b32 v7, -1, 0
	s_wait_kmcnt 0x0
	v_lshl_add_u64 v[4:5], v[4:5], 2, s[6:7]
	global_load_b32 v3, v[4:5], off
	s_clause 0x2
	s_load_b32 s12, s[0:1], 0x2c
	s_load_b64 s[6:7], s[0:1], 0x10
	s_load_b64 s[10:11], s[0:1], 0x20
	v_not_b32_e32 v4, v1
	v_dual_mov_b32 v1, 0 :: v_dual_bitop2_b32 v5, 62, v0 bitop3:0x40
	s_wait_xcnt 0x0
	s_mov_b32 s1, 0
	s_delay_alu instid0(VALU_DEP_2) | instskip(NEXT) | instid1(VALU_DEP_1)
	v_lshrrev_b32_e64 v0, v4, -1
	v_lshlrev_b64_e32 v[4:5], v5, v[0:1]
	v_lshl_or_b32 v5, v7, 2, 4
	s_wait_kmcnt 0x0
	s_sub_co_i32 s9, s12, s9
	s_wait_loadcnt 0x0
	v_subrev_nc_u32_e32 v6, s12, v3
	s_branch .LBB5_6
.LBB5_5:                                ;   in Loop: Header=BB5_6 Depth=1
	s_wait_xcnt 0x0
	s_or_b32 exec_lo, exec_lo, s0
	ds_bpermute_b32 v0, v5, v0
	v_add_nc_u32_e32 v2, 2, v2
	s_delay_alu instid0(VALU_DEP_1)
	v_cmp_ge_i32_e32 vcc_lo, v2, v8
	s_or_b32 s1, vcc_lo, s1
	s_wait_dscnt 0x0
	v_add_nc_u32_e32 v6, v0, v6
	s_and_not1_b32 exec_lo, exec_lo, s1
	s_cbranch_execz .LBB5_8
.LBB5_6:                                ; =>This Inner Loop Header: Depth=1
	global_load_b32 v9, v2, s[6:7] scale_offset
	v_ashrrev_i32_e32 v3, 31, v2
	s_wait_loadcnt 0x0
	v_cmp_gt_f32_e32 vcc_lo, 0, v9
	v_cndmask_b32_e64 v0, v9, -v9, vcc_lo
	s_delay_alu instid0(VALU_DEP_1) | instskip(SKIP_2) | instid1(SALU_CYCLE_1)
	v_cmp_lt_f32_e32 vcc_lo, s8, v0
	v_cmp_lt_f32_e64 s0, 0x800000, v0
	s_and_b32 s12, vcc_lo, s0
	v_cndmask_b32_e64 v0, 0, 1, s12
	s_delay_alu instid0(VALU_DEP_1) | instskip(SKIP_1) | instid1(VALU_DEP_1)
	v_cmp_ne_u32_e32 vcc_lo, 0, v0
	v_and_b32_e32 v0, vcc_lo, v4
	v_bcnt_u32_b32 v0, v0, 0
	s_wait_xcnt 0x0
	s_and_saveexec_b32 s0, s12
	s_cbranch_execz .LBB5_5
; %bb.7:                                ;   in Loop: Header=BB5_6 Depth=1
	v_lshl_add_u64 v[10:11], v[2:3], 2, s[10:11]
	global_load_b32 v3, v[10:11], off
	s_wait_loadcnt 0x0
	v_dual_ashrrev_i32 v7, 31, v6 :: v_dual_add_nc_u32 v3, s9, v3
	s_wait_xcnt 0x0
	s_delay_alu instid0(VALU_DEP_1) | instskip(NEXT) | instid1(VALU_DEP_1)
	v_add_nc_u64_e32 v[10:11], v[6:7], v[0:1]
	v_lshlrev_b64_e32 v[10:11], 2, v[10:11]
	s_delay_alu instid0(VALU_DEP_1)
	v_add_nc_u64_e32 v[12:13], s[4:5], v[10:11]
	v_add_nc_u64_e32 v[10:11], s[2:3], v[10:11]
	global_store_b32 v[12:13], v9, off offset:-4
	global_store_b32 v[10:11], v3, off offset:-4
	s_branch .LBB5_5
.LBB5_8:
	s_endpgm
	.section	.rodata,"a",@progbits
	.p2align	6, 0x0
	.amdhsa_kernel _ZN9rocsparseL23csr2csr_compress_kernelILi1024ELi512ELi2ELi64EfEEvii21rocsparse_index_base_PKT3_PKiS6_iS1_PS2_S6_PiNS_24const_host_device_scalarIS2_EEb
		.amdhsa_group_segment_fixed_size 0
		.amdhsa_private_segment_fixed_size 0
		.amdhsa_kernarg_size 84
		.amdhsa_user_sgpr_count 2
		.amdhsa_user_sgpr_dispatch_ptr 0
		.amdhsa_user_sgpr_queue_ptr 0
		.amdhsa_user_sgpr_kernarg_segment_ptr 1
		.amdhsa_user_sgpr_dispatch_id 0
		.amdhsa_user_sgpr_kernarg_preload_length 0
		.amdhsa_user_sgpr_kernarg_preload_offset 0
		.amdhsa_user_sgpr_private_segment_size 0
		.amdhsa_wavefront_size32 1
		.amdhsa_uses_dynamic_stack 0
		.amdhsa_enable_private_segment 0
		.amdhsa_system_sgpr_workgroup_id_x 1
		.amdhsa_system_sgpr_workgroup_id_y 0
		.amdhsa_system_sgpr_workgroup_id_z 0
		.amdhsa_system_sgpr_workgroup_info 0
		.amdhsa_system_vgpr_workitem_id 0
		.amdhsa_next_free_vgpr 14
		.amdhsa_next_free_sgpr 13
		.amdhsa_named_barrier_count 0
		.amdhsa_reserve_vcc 1
		.amdhsa_float_round_mode_32 0
		.amdhsa_float_round_mode_16_64 0
		.amdhsa_float_denorm_mode_32 3
		.amdhsa_float_denorm_mode_16_64 3
		.amdhsa_fp16_overflow 0
		.amdhsa_memory_ordered 1
		.amdhsa_forward_progress 1
		.amdhsa_inst_pref_size 5
		.amdhsa_round_robin_scheduling 0
		.amdhsa_exception_fp_ieee_invalid_op 0
		.amdhsa_exception_fp_denorm_src 0
		.amdhsa_exception_fp_ieee_div_zero 0
		.amdhsa_exception_fp_ieee_overflow 0
		.amdhsa_exception_fp_ieee_underflow 0
		.amdhsa_exception_fp_ieee_inexact 0
		.amdhsa_exception_int_div_zero 0
	.end_amdhsa_kernel
	.section	.text._ZN9rocsparseL23csr2csr_compress_kernelILi1024ELi512ELi2ELi64EfEEvii21rocsparse_index_base_PKT3_PKiS6_iS1_PS2_S6_PiNS_24const_host_device_scalarIS2_EEb,"axG",@progbits,_ZN9rocsparseL23csr2csr_compress_kernelILi1024ELi512ELi2ELi64EfEEvii21rocsparse_index_base_PKT3_PKiS6_iS1_PS2_S6_PiNS_24const_host_device_scalarIS2_EEb,comdat
.Lfunc_end5:
	.size	_ZN9rocsparseL23csr2csr_compress_kernelILi1024ELi512ELi2ELi64EfEEvii21rocsparse_index_base_PKT3_PKiS6_iS1_PS2_S6_PiNS_24const_host_device_scalarIS2_EEb, .Lfunc_end5-_ZN9rocsparseL23csr2csr_compress_kernelILi1024ELi512ELi2ELi64EfEEvii21rocsparse_index_base_PKT3_PKiS6_iS1_PS2_S6_PiNS_24const_host_device_scalarIS2_EEb
                                        ; -- End function
	.set _ZN9rocsparseL23csr2csr_compress_kernelILi1024ELi512ELi2ELi64EfEEvii21rocsparse_index_base_PKT3_PKiS6_iS1_PS2_S6_PiNS_24const_host_device_scalarIS2_EEb.num_vgpr, 14
	.set _ZN9rocsparseL23csr2csr_compress_kernelILi1024ELi512ELi2ELi64EfEEvii21rocsparse_index_base_PKT3_PKiS6_iS1_PS2_S6_PiNS_24const_host_device_scalarIS2_EEb.num_agpr, 0
	.set _ZN9rocsparseL23csr2csr_compress_kernelILi1024ELi512ELi2ELi64EfEEvii21rocsparse_index_base_PKT3_PKiS6_iS1_PS2_S6_PiNS_24const_host_device_scalarIS2_EEb.numbered_sgpr, 13
	.set _ZN9rocsparseL23csr2csr_compress_kernelILi1024ELi512ELi2ELi64EfEEvii21rocsparse_index_base_PKT3_PKiS6_iS1_PS2_S6_PiNS_24const_host_device_scalarIS2_EEb.num_named_barrier, 0
	.set _ZN9rocsparseL23csr2csr_compress_kernelILi1024ELi512ELi2ELi64EfEEvii21rocsparse_index_base_PKT3_PKiS6_iS1_PS2_S6_PiNS_24const_host_device_scalarIS2_EEb.private_seg_size, 0
	.set _ZN9rocsparseL23csr2csr_compress_kernelILi1024ELi512ELi2ELi64EfEEvii21rocsparse_index_base_PKT3_PKiS6_iS1_PS2_S6_PiNS_24const_host_device_scalarIS2_EEb.uses_vcc, 1
	.set _ZN9rocsparseL23csr2csr_compress_kernelILi1024ELi512ELi2ELi64EfEEvii21rocsparse_index_base_PKT3_PKiS6_iS1_PS2_S6_PiNS_24const_host_device_scalarIS2_EEb.uses_flat_scratch, 0
	.set _ZN9rocsparseL23csr2csr_compress_kernelILi1024ELi512ELi2ELi64EfEEvii21rocsparse_index_base_PKT3_PKiS6_iS1_PS2_S6_PiNS_24const_host_device_scalarIS2_EEb.has_dyn_sized_stack, 0
	.set _ZN9rocsparseL23csr2csr_compress_kernelILi1024ELi512ELi2ELi64EfEEvii21rocsparse_index_base_PKT3_PKiS6_iS1_PS2_S6_PiNS_24const_host_device_scalarIS2_EEb.has_recursion, 0
	.set _ZN9rocsparseL23csr2csr_compress_kernelILi1024ELi512ELi2ELi64EfEEvii21rocsparse_index_base_PKT3_PKiS6_iS1_PS2_S6_PiNS_24const_host_device_scalarIS2_EEb.has_indirect_call, 0
	.section	.AMDGPU.csdata,"",@progbits
; Kernel info:
; codeLenInByte = 600
; TotalNumSgprs: 15
; NumVgprs: 14
; ScratchSize: 0
; MemoryBound: 0
; FloatMode: 240
; IeeeMode: 1
; LDSByteSize: 0 bytes/workgroup (compile time only)
; SGPRBlocks: 0
; VGPRBlocks: 0
; NumSGPRsForWavesPerEU: 15
; NumVGPRsForWavesPerEU: 14
; NamedBarCnt: 0
; Occupancy: 16
; WaveLimiterHint : 0
; COMPUTE_PGM_RSRC2:SCRATCH_EN: 0
; COMPUTE_PGM_RSRC2:USER_SGPR: 2
; COMPUTE_PGM_RSRC2:TRAP_HANDLER: 0
; COMPUTE_PGM_RSRC2:TGID_X_EN: 1
; COMPUTE_PGM_RSRC2:TGID_Y_EN: 0
; COMPUTE_PGM_RSRC2:TGID_Z_EN: 0
; COMPUTE_PGM_RSRC2:TIDIG_COMP_CNT: 0
	.section	.text._ZN9rocsparseL23csr2csr_compress_kernelILi1024ELi256ELi4ELi64EfEEvii21rocsparse_index_base_PKT3_PKiS6_iS1_PS2_S6_PiNS_24const_host_device_scalarIS2_EEb,"axG",@progbits,_ZN9rocsparseL23csr2csr_compress_kernelILi1024ELi256ELi4ELi64EfEEvii21rocsparse_index_base_PKT3_PKiS6_iS1_PS2_S6_PiNS_24const_host_device_scalarIS2_EEb,comdat
	.globl	_ZN9rocsparseL23csr2csr_compress_kernelILi1024ELi256ELi4ELi64EfEEvii21rocsparse_index_base_PKT3_PKiS6_iS1_PS2_S6_PiNS_24const_host_device_scalarIS2_EEb ; -- Begin function _ZN9rocsparseL23csr2csr_compress_kernelILi1024ELi256ELi4ELi64EfEEvii21rocsparse_index_base_PKT3_PKiS6_iS1_PS2_S6_PiNS_24const_host_device_scalarIS2_EEb
	.p2align	8
	.type	_ZN9rocsparseL23csr2csr_compress_kernelILi1024ELi256ELi4ELi64EfEEvii21rocsparse_index_base_PKT3_PKiS6_iS1_PS2_S6_PiNS_24const_host_device_scalarIS2_EEb,@function
_ZN9rocsparseL23csr2csr_compress_kernelILi1024ELi256ELi4ELi64EfEEvii21rocsparse_index_base_PKT3_PKiS6_iS1_PS2_S6_PiNS_24const_host_device_scalarIS2_EEb: ; @_ZN9rocsparseL23csr2csr_compress_kernelILi1024ELi256ELi4ELi64EfEEvii21rocsparse_index_base_PKT3_PKiS6_iS1_PS2_S6_PiNS_24const_host_device_scalarIS2_EEb
; %bb.0:
	s_load_b96 s[8:10], s[0:1], 0x48
	s_wait_kmcnt 0x0
	s_bitcmp1_b32 s10, 0
	s_cselect_b32 s2, -1, 0
	s_delay_alu instid0(SALU_CYCLE_1)
	s_and_b32 vcc_lo, exec_lo, s2
	s_cbranch_vccnz .LBB6_2
; %bb.1:
	s_load_b32 s8, s[8:9], 0x0
.LBB6_2:
	s_nop 0
	s_load_b32 s2, s[0:1], 0x0
	s_bfe_u32 s3, ttmp6, 0x4000c
	s_and_b32 s4, ttmp6, 15
	s_add_co_i32 s3, s3, 1
	s_getreg_b32 s5, hwreg(HW_REG_IB_STS2, 6, 4)
	s_mul_i32 s3, ttmp9, s3
	v_lshrrev_b32_e32 v1, 2, v0
	s_add_co_i32 s4, s4, s3
	s_cmp_eq_u32 s5, 0
	s_cselect_b32 s3, ttmp9, s4
	s_delay_alu instid0(VALU_DEP_1) | instid1(SALU_CYCLE_1)
	v_lshl_or_b32 v4, s3, 8, v1
	s_wait_kmcnt 0x0
	s_delay_alu instid0(VALU_DEP_1)
	v_cmp_gt_i32_e32 vcc_lo, s2, v4
	s_and_saveexec_b32 s2, vcc_lo
	s_cbranch_execz .LBB6_8
; %bb.3:
	s_clause 0x1
	s_load_b64 s[2:3], s[0:1], 0x18
	s_load_b32 s9, s[0:1], 0x8
	v_and_b32_e32 v1, 3, v0
	s_wait_kmcnt 0x0
	s_delay_alu instid0(VALU_DEP_1) | instskip(SKIP_1) | instid1(VALU_DEP_1)
	v_subrev_nc_u32_e32 v6, s9, v1
	v_ashrrev_i32_e32 v5, 31, v4
	v_lshl_add_u64 v[2:3], v[4:5], 2, s[2:3]
	global_load_b64 v[2:3], v[2:3], off
	s_wait_loadcnt 0x0
	v_subrev_nc_u32_e32 v8, s9, v3
	v_add_nc_u32_e32 v2, v2, v6
	s_delay_alu instid0(VALU_DEP_1)
	v_cmp_lt_i32_e32 vcc_lo, v2, v8
	s_and_b32 exec_lo, exec_lo, vcc_lo
	s_cbranch_execz .LBB6_8
; %bb.4:
	s_clause 0x1
	s_load_b128 s[4:7], s[0:1], 0x30
	s_load_b64 s[2:3], s[0:1], 0x40
	v_mbcnt_lo_u32_b32 v7, -1, 0
	s_wait_kmcnt 0x0
	v_lshl_add_u64 v[4:5], v[4:5], 2, s[6:7]
	global_load_b32 v3, v[4:5], off
	s_clause 0x2
	s_load_b32 s12, s[0:1], 0x2c
	s_load_b64 s[6:7], s[0:1], 0x10
	s_load_b64 s[10:11], s[0:1], 0x20
	v_not_b32_e32 v4, v1
	v_dual_mov_b32 v1, 0 :: v_dual_bitop2_b32 v5, 60, v0 bitop3:0x40
	s_wait_xcnt 0x0
	s_mov_b32 s1, 0
	s_delay_alu instid0(VALU_DEP_2) | instskip(NEXT) | instid1(VALU_DEP_1)
	v_lshrrev_b32_e64 v0, v4, -1
	v_lshlrev_b64_e32 v[4:5], v5, v[0:1]
	v_lshl_or_b32 v5, v7, 2, 12
	s_wait_kmcnt 0x0
	s_sub_co_i32 s9, s12, s9
	s_wait_loadcnt 0x0
	v_subrev_nc_u32_e32 v6, s12, v3
	s_branch .LBB6_6
.LBB6_5:                                ;   in Loop: Header=BB6_6 Depth=1
	s_wait_xcnt 0x0
	s_or_b32 exec_lo, exec_lo, s0
	ds_bpermute_b32 v0, v5, v0
	v_add_nc_u32_e32 v2, 4, v2
	s_delay_alu instid0(VALU_DEP_1)
	v_cmp_ge_i32_e32 vcc_lo, v2, v8
	s_or_b32 s1, vcc_lo, s1
	s_wait_dscnt 0x0
	v_add_nc_u32_e32 v6, v0, v6
	s_and_not1_b32 exec_lo, exec_lo, s1
	s_cbranch_execz .LBB6_8
.LBB6_6:                                ; =>This Inner Loop Header: Depth=1
	global_load_b32 v9, v2, s[6:7] scale_offset
	v_ashrrev_i32_e32 v3, 31, v2
	s_wait_loadcnt 0x0
	v_cmp_gt_f32_e32 vcc_lo, 0, v9
	v_cndmask_b32_e64 v0, v9, -v9, vcc_lo
	s_delay_alu instid0(VALU_DEP_1) | instskip(SKIP_2) | instid1(SALU_CYCLE_1)
	v_cmp_lt_f32_e32 vcc_lo, s8, v0
	v_cmp_lt_f32_e64 s0, 0x800000, v0
	s_and_b32 s12, vcc_lo, s0
	v_cndmask_b32_e64 v0, 0, 1, s12
	s_delay_alu instid0(VALU_DEP_1) | instskip(SKIP_1) | instid1(VALU_DEP_1)
	v_cmp_ne_u32_e32 vcc_lo, 0, v0
	v_and_b32_e32 v0, vcc_lo, v4
	v_bcnt_u32_b32 v0, v0, 0
	s_wait_xcnt 0x0
	s_and_saveexec_b32 s0, s12
	s_cbranch_execz .LBB6_5
; %bb.7:                                ;   in Loop: Header=BB6_6 Depth=1
	v_lshl_add_u64 v[10:11], v[2:3], 2, s[10:11]
	global_load_b32 v3, v[10:11], off
	s_wait_loadcnt 0x0
	v_dual_ashrrev_i32 v7, 31, v6 :: v_dual_add_nc_u32 v3, s9, v3
	s_wait_xcnt 0x0
	s_delay_alu instid0(VALU_DEP_1) | instskip(NEXT) | instid1(VALU_DEP_1)
	v_add_nc_u64_e32 v[10:11], v[6:7], v[0:1]
	v_lshlrev_b64_e32 v[10:11], 2, v[10:11]
	s_delay_alu instid0(VALU_DEP_1)
	v_add_nc_u64_e32 v[12:13], s[4:5], v[10:11]
	v_add_nc_u64_e32 v[10:11], s[2:3], v[10:11]
	global_store_b32 v[12:13], v9, off offset:-4
	global_store_b32 v[10:11], v3, off offset:-4
	s_branch .LBB6_5
.LBB6_8:
	s_endpgm
	.section	.rodata,"a",@progbits
	.p2align	6, 0x0
	.amdhsa_kernel _ZN9rocsparseL23csr2csr_compress_kernelILi1024ELi256ELi4ELi64EfEEvii21rocsparse_index_base_PKT3_PKiS6_iS1_PS2_S6_PiNS_24const_host_device_scalarIS2_EEb
		.amdhsa_group_segment_fixed_size 0
		.amdhsa_private_segment_fixed_size 0
		.amdhsa_kernarg_size 84
		.amdhsa_user_sgpr_count 2
		.amdhsa_user_sgpr_dispatch_ptr 0
		.amdhsa_user_sgpr_queue_ptr 0
		.amdhsa_user_sgpr_kernarg_segment_ptr 1
		.amdhsa_user_sgpr_dispatch_id 0
		.amdhsa_user_sgpr_kernarg_preload_length 0
		.amdhsa_user_sgpr_kernarg_preload_offset 0
		.amdhsa_user_sgpr_private_segment_size 0
		.amdhsa_wavefront_size32 1
		.amdhsa_uses_dynamic_stack 0
		.amdhsa_enable_private_segment 0
		.amdhsa_system_sgpr_workgroup_id_x 1
		.amdhsa_system_sgpr_workgroup_id_y 0
		.amdhsa_system_sgpr_workgroup_id_z 0
		.amdhsa_system_sgpr_workgroup_info 0
		.amdhsa_system_vgpr_workitem_id 0
		.amdhsa_next_free_vgpr 14
		.amdhsa_next_free_sgpr 13
		.amdhsa_named_barrier_count 0
		.amdhsa_reserve_vcc 1
		.amdhsa_float_round_mode_32 0
		.amdhsa_float_round_mode_16_64 0
		.amdhsa_float_denorm_mode_32 3
		.amdhsa_float_denorm_mode_16_64 3
		.amdhsa_fp16_overflow 0
		.amdhsa_memory_ordered 1
		.amdhsa_forward_progress 1
		.amdhsa_inst_pref_size 5
		.amdhsa_round_robin_scheduling 0
		.amdhsa_exception_fp_ieee_invalid_op 0
		.amdhsa_exception_fp_denorm_src 0
		.amdhsa_exception_fp_ieee_div_zero 0
		.amdhsa_exception_fp_ieee_overflow 0
		.amdhsa_exception_fp_ieee_underflow 0
		.amdhsa_exception_fp_ieee_inexact 0
		.amdhsa_exception_int_div_zero 0
	.end_amdhsa_kernel
	.section	.text._ZN9rocsparseL23csr2csr_compress_kernelILi1024ELi256ELi4ELi64EfEEvii21rocsparse_index_base_PKT3_PKiS6_iS1_PS2_S6_PiNS_24const_host_device_scalarIS2_EEb,"axG",@progbits,_ZN9rocsparseL23csr2csr_compress_kernelILi1024ELi256ELi4ELi64EfEEvii21rocsparse_index_base_PKT3_PKiS6_iS1_PS2_S6_PiNS_24const_host_device_scalarIS2_EEb,comdat
.Lfunc_end6:
	.size	_ZN9rocsparseL23csr2csr_compress_kernelILi1024ELi256ELi4ELi64EfEEvii21rocsparse_index_base_PKT3_PKiS6_iS1_PS2_S6_PiNS_24const_host_device_scalarIS2_EEb, .Lfunc_end6-_ZN9rocsparseL23csr2csr_compress_kernelILi1024ELi256ELi4ELi64EfEEvii21rocsparse_index_base_PKT3_PKiS6_iS1_PS2_S6_PiNS_24const_host_device_scalarIS2_EEb
                                        ; -- End function
	.set _ZN9rocsparseL23csr2csr_compress_kernelILi1024ELi256ELi4ELi64EfEEvii21rocsparse_index_base_PKT3_PKiS6_iS1_PS2_S6_PiNS_24const_host_device_scalarIS2_EEb.num_vgpr, 14
	.set _ZN9rocsparseL23csr2csr_compress_kernelILi1024ELi256ELi4ELi64EfEEvii21rocsparse_index_base_PKT3_PKiS6_iS1_PS2_S6_PiNS_24const_host_device_scalarIS2_EEb.num_agpr, 0
	.set _ZN9rocsparseL23csr2csr_compress_kernelILi1024ELi256ELi4ELi64EfEEvii21rocsparse_index_base_PKT3_PKiS6_iS1_PS2_S6_PiNS_24const_host_device_scalarIS2_EEb.numbered_sgpr, 13
	.set _ZN9rocsparseL23csr2csr_compress_kernelILi1024ELi256ELi4ELi64EfEEvii21rocsparse_index_base_PKT3_PKiS6_iS1_PS2_S6_PiNS_24const_host_device_scalarIS2_EEb.num_named_barrier, 0
	.set _ZN9rocsparseL23csr2csr_compress_kernelILi1024ELi256ELi4ELi64EfEEvii21rocsparse_index_base_PKT3_PKiS6_iS1_PS2_S6_PiNS_24const_host_device_scalarIS2_EEb.private_seg_size, 0
	.set _ZN9rocsparseL23csr2csr_compress_kernelILi1024ELi256ELi4ELi64EfEEvii21rocsparse_index_base_PKT3_PKiS6_iS1_PS2_S6_PiNS_24const_host_device_scalarIS2_EEb.uses_vcc, 1
	.set _ZN9rocsparseL23csr2csr_compress_kernelILi1024ELi256ELi4ELi64EfEEvii21rocsparse_index_base_PKT3_PKiS6_iS1_PS2_S6_PiNS_24const_host_device_scalarIS2_EEb.uses_flat_scratch, 0
	.set _ZN9rocsparseL23csr2csr_compress_kernelILi1024ELi256ELi4ELi64EfEEvii21rocsparse_index_base_PKT3_PKiS6_iS1_PS2_S6_PiNS_24const_host_device_scalarIS2_EEb.has_dyn_sized_stack, 0
	.set _ZN9rocsparseL23csr2csr_compress_kernelILi1024ELi256ELi4ELi64EfEEvii21rocsparse_index_base_PKT3_PKiS6_iS1_PS2_S6_PiNS_24const_host_device_scalarIS2_EEb.has_recursion, 0
	.set _ZN9rocsparseL23csr2csr_compress_kernelILi1024ELi256ELi4ELi64EfEEvii21rocsparse_index_base_PKT3_PKiS6_iS1_PS2_S6_PiNS_24const_host_device_scalarIS2_EEb.has_indirect_call, 0
	.section	.AMDGPU.csdata,"",@progbits
; Kernel info:
; codeLenInByte = 600
; TotalNumSgprs: 15
; NumVgprs: 14
; ScratchSize: 0
; MemoryBound: 0
; FloatMode: 240
; IeeeMode: 1
; LDSByteSize: 0 bytes/workgroup (compile time only)
; SGPRBlocks: 0
; VGPRBlocks: 0
; NumSGPRsForWavesPerEU: 15
; NumVGPRsForWavesPerEU: 14
; NamedBarCnt: 0
; Occupancy: 16
; WaveLimiterHint : 0
; COMPUTE_PGM_RSRC2:SCRATCH_EN: 0
; COMPUTE_PGM_RSRC2:USER_SGPR: 2
; COMPUTE_PGM_RSRC2:TRAP_HANDLER: 0
; COMPUTE_PGM_RSRC2:TGID_X_EN: 1
; COMPUTE_PGM_RSRC2:TGID_Y_EN: 0
; COMPUTE_PGM_RSRC2:TGID_Z_EN: 0
; COMPUTE_PGM_RSRC2:TIDIG_COMP_CNT: 0
	.section	.text._ZN9rocsparseL23csr2csr_compress_kernelILi1024ELi128ELi8ELi64EfEEvii21rocsparse_index_base_PKT3_PKiS6_iS1_PS2_S6_PiNS_24const_host_device_scalarIS2_EEb,"axG",@progbits,_ZN9rocsparseL23csr2csr_compress_kernelILi1024ELi128ELi8ELi64EfEEvii21rocsparse_index_base_PKT3_PKiS6_iS1_PS2_S6_PiNS_24const_host_device_scalarIS2_EEb,comdat
	.globl	_ZN9rocsparseL23csr2csr_compress_kernelILi1024ELi128ELi8ELi64EfEEvii21rocsparse_index_base_PKT3_PKiS6_iS1_PS2_S6_PiNS_24const_host_device_scalarIS2_EEb ; -- Begin function _ZN9rocsparseL23csr2csr_compress_kernelILi1024ELi128ELi8ELi64EfEEvii21rocsparse_index_base_PKT3_PKiS6_iS1_PS2_S6_PiNS_24const_host_device_scalarIS2_EEb
	.p2align	8
	.type	_ZN9rocsparseL23csr2csr_compress_kernelILi1024ELi128ELi8ELi64EfEEvii21rocsparse_index_base_PKT3_PKiS6_iS1_PS2_S6_PiNS_24const_host_device_scalarIS2_EEb,@function
_ZN9rocsparseL23csr2csr_compress_kernelILi1024ELi128ELi8ELi64EfEEvii21rocsparse_index_base_PKT3_PKiS6_iS1_PS2_S6_PiNS_24const_host_device_scalarIS2_EEb: ; @_ZN9rocsparseL23csr2csr_compress_kernelILi1024ELi128ELi8ELi64EfEEvii21rocsparse_index_base_PKT3_PKiS6_iS1_PS2_S6_PiNS_24const_host_device_scalarIS2_EEb
; %bb.0:
	s_load_b96 s[8:10], s[0:1], 0x48
	s_wait_kmcnt 0x0
	s_bitcmp1_b32 s10, 0
	s_cselect_b32 s2, -1, 0
	s_delay_alu instid0(SALU_CYCLE_1)
	s_and_b32 vcc_lo, exec_lo, s2
	s_cbranch_vccnz .LBB7_2
; %bb.1:
	s_load_b32 s8, s[8:9], 0x0
.LBB7_2:
	s_nop 0
	s_load_b32 s2, s[0:1], 0x0
	s_bfe_u32 s3, ttmp6, 0x4000c
	s_and_b32 s4, ttmp6, 15
	s_add_co_i32 s3, s3, 1
	s_getreg_b32 s5, hwreg(HW_REG_IB_STS2, 6, 4)
	s_mul_i32 s3, ttmp9, s3
	v_lshrrev_b32_e32 v1, 3, v0
	s_add_co_i32 s4, s4, s3
	s_cmp_eq_u32 s5, 0
	s_cselect_b32 s3, ttmp9, s4
	s_delay_alu instid0(VALU_DEP_1) | instid1(SALU_CYCLE_1)
	v_lshl_or_b32 v4, s3, 7, v1
	s_wait_kmcnt 0x0
	s_delay_alu instid0(VALU_DEP_1)
	v_cmp_gt_i32_e32 vcc_lo, s2, v4
	s_and_saveexec_b32 s2, vcc_lo
	s_cbranch_execz .LBB7_8
; %bb.3:
	s_clause 0x1
	s_load_b64 s[2:3], s[0:1], 0x18
	s_load_b32 s9, s[0:1], 0x8
	v_and_b32_e32 v1, 7, v0
	s_wait_kmcnt 0x0
	s_delay_alu instid0(VALU_DEP_1) | instskip(SKIP_1) | instid1(VALU_DEP_1)
	v_subrev_nc_u32_e32 v6, s9, v1
	v_ashrrev_i32_e32 v5, 31, v4
	v_lshl_add_u64 v[2:3], v[4:5], 2, s[2:3]
	global_load_b64 v[2:3], v[2:3], off
	s_wait_loadcnt 0x0
	v_subrev_nc_u32_e32 v8, s9, v3
	v_add_nc_u32_e32 v2, v2, v6
	s_delay_alu instid0(VALU_DEP_1)
	v_cmp_lt_i32_e32 vcc_lo, v2, v8
	s_and_b32 exec_lo, exec_lo, vcc_lo
	s_cbranch_execz .LBB7_8
; %bb.4:
	s_clause 0x1
	s_load_b128 s[4:7], s[0:1], 0x30
	s_load_b64 s[2:3], s[0:1], 0x40
	v_mbcnt_lo_u32_b32 v7, -1, 0
	s_wait_kmcnt 0x0
	v_lshl_add_u64 v[4:5], v[4:5], 2, s[6:7]
	global_load_b32 v3, v[4:5], off
	s_clause 0x2
	s_load_b32 s12, s[0:1], 0x2c
	s_load_b64 s[6:7], s[0:1], 0x10
	s_load_b64 s[10:11], s[0:1], 0x20
	v_not_b32_e32 v4, v1
	v_dual_mov_b32 v1, 0 :: v_dual_bitop2_b32 v5, 56, v0 bitop3:0x40
	s_wait_xcnt 0x0
	s_mov_b32 s1, 0
	s_delay_alu instid0(VALU_DEP_2) | instskip(NEXT) | instid1(VALU_DEP_1)
	v_lshrrev_b32_e64 v0, v4, -1
	v_lshlrev_b64_e32 v[4:5], v5, v[0:1]
	v_lshl_or_b32 v5, v7, 2, 28
	s_wait_kmcnt 0x0
	s_sub_co_i32 s9, s12, s9
	s_wait_loadcnt 0x0
	v_subrev_nc_u32_e32 v6, s12, v3
	s_branch .LBB7_6
.LBB7_5:                                ;   in Loop: Header=BB7_6 Depth=1
	s_wait_xcnt 0x0
	s_or_b32 exec_lo, exec_lo, s0
	ds_bpermute_b32 v0, v5, v0
	v_add_nc_u32_e32 v2, 8, v2
	s_delay_alu instid0(VALU_DEP_1)
	v_cmp_ge_i32_e32 vcc_lo, v2, v8
	s_or_b32 s1, vcc_lo, s1
	s_wait_dscnt 0x0
	v_add_nc_u32_e32 v6, v0, v6
	s_and_not1_b32 exec_lo, exec_lo, s1
	s_cbranch_execz .LBB7_8
.LBB7_6:                                ; =>This Inner Loop Header: Depth=1
	global_load_b32 v9, v2, s[6:7] scale_offset
	v_ashrrev_i32_e32 v3, 31, v2
	s_wait_loadcnt 0x0
	v_cmp_gt_f32_e32 vcc_lo, 0, v9
	v_cndmask_b32_e64 v0, v9, -v9, vcc_lo
	s_delay_alu instid0(VALU_DEP_1) | instskip(SKIP_2) | instid1(SALU_CYCLE_1)
	v_cmp_lt_f32_e32 vcc_lo, s8, v0
	v_cmp_lt_f32_e64 s0, 0x800000, v0
	s_and_b32 s12, vcc_lo, s0
	v_cndmask_b32_e64 v0, 0, 1, s12
	s_delay_alu instid0(VALU_DEP_1) | instskip(SKIP_1) | instid1(VALU_DEP_1)
	v_cmp_ne_u32_e32 vcc_lo, 0, v0
	v_and_b32_e32 v0, vcc_lo, v4
	v_bcnt_u32_b32 v0, v0, 0
	s_wait_xcnt 0x0
	s_and_saveexec_b32 s0, s12
	s_cbranch_execz .LBB7_5
; %bb.7:                                ;   in Loop: Header=BB7_6 Depth=1
	v_lshl_add_u64 v[10:11], v[2:3], 2, s[10:11]
	global_load_b32 v3, v[10:11], off
	s_wait_loadcnt 0x0
	v_dual_ashrrev_i32 v7, 31, v6 :: v_dual_add_nc_u32 v3, s9, v3
	s_wait_xcnt 0x0
	s_delay_alu instid0(VALU_DEP_1) | instskip(NEXT) | instid1(VALU_DEP_1)
	v_add_nc_u64_e32 v[10:11], v[6:7], v[0:1]
	v_lshlrev_b64_e32 v[10:11], 2, v[10:11]
	s_delay_alu instid0(VALU_DEP_1)
	v_add_nc_u64_e32 v[12:13], s[4:5], v[10:11]
	v_add_nc_u64_e32 v[10:11], s[2:3], v[10:11]
	global_store_b32 v[12:13], v9, off offset:-4
	global_store_b32 v[10:11], v3, off offset:-4
	s_branch .LBB7_5
.LBB7_8:
	s_endpgm
	.section	.rodata,"a",@progbits
	.p2align	6, 0x0
	.amdhsa_kernel _ZN9rocsparseL23csr2csr_compress_kernelILi1024ELi128ELi8ELi64EfEEvii21rocsparse_index_base_PKT3_PKiS6_iS1_PS2_S6_PiNS_24const_host_device_scalarIS2_EEb
		.amdhsa_group_segment_fixed_size 0
		.amdhsa_private_segment_fixed_size 0
		.amdhsa_kernarg_size 84
		.amdhsa_user_sgpr_count 2
		.amdhsa_user_sgpr_dispatch_ptr 0
		.amdhsa_user_sgpr_queue_ptr 0
		.amdhsa_user_sgpr_kernarg_segment_ptr 1
		.amdhsa_user_sgpr_dispatch_id 0
		.amdhsa_user_sgpr_kernarg_preload_length 0
		.amdhsa_user_sgpr_kernarg_preload_offset 0
		.amdhsa_user_sgpr_private_segment_size 0
		.amdhsa_wavefront_size32 1
		.amdhsa_uses_dynamic_stack 0
		.amdhsa_enable_private_segment 0
		.amdhsa_system_sgpr_workgroup_id_x 1
		.amdhsa_system_sgpr_workgroup_id_y 0
		.amdhsa_system_sgpr_workgroup_id_z 0
		.amdhsa_system_sgpr_workgroup_info 0
		.amdhsa_system_vgpr_workitem_id 0
		.amdhsa_next_free_vgpr 14
		.amdhsa_next_free_sgpr 13
		.amdhsa_named_barrier_count 0
		.amdhsa_reserve_vcc 1
		.amdhsa_float_round_mode_32 0
		.amdhsa_float_round_mode_16_64 0
		.amdhsa_float_denorm_mode_32 3
		.amdhsa_float_denorm_mode_16_64 3
		.amdhsa_fp16_overflow 0
		.amdhsa_memory_ordered 1
		.amdhsa_forward_progress 1
		.amdhsa_inst_pref_size 5
		.amdhsa_round_robin_scheduling 0
		.amdhsa_exception_fp_ieee_invalid_op 0
		.amdhsa_exception_fp_denorm_src 0
		.amdhsa_exception_fp_ieee_div_zero 0
		.amdhsa_exception_fp_ieee_overflow 0
		.amdhsa_exception_fp_ieee_underflow 0
		.amdhsa_exception_fp_ieee_inexact 0
		.amdhsa_exception_int_div_zero 0
	.end_amdhsa_kernel
	.section	.text._ZN9rocsparseL23csr2csr_compress_kernelILi1024ELi128ELi8ELi64EfEEvii21rocsparse_index_base_PKT3_PKiS6_iS1_PS2_S6_PiNS_24const_host_device_scalarIS2_EEb,"axG",@progbits,_ZN9rocsparseL23csr2csr_compress_kernelILi1024ELi128ELi8ELi64EfEEvii21rocsparse_index_base_PKT3_PKiS6_iS1_PS2_S6_PiNS_24const_host_device_scalarIS2_EEb,comdat
.Lfunc_end7:
	.size	_ZN9rocsparseL23csr2csr_compress_kernelILi1024ELi128ELi8ELi64EfEEvii21rocsparse_index_base_PKT3_PKiS6_iS1_PS2_S6_PiNS_24const_host_device_scalarIS2_EEb, .Lfunc_end7-_ZN9rocsparseL23csr2csr_compress_kernelILi1024ELi128ELi8ELi64EfEEvii21rocsparse_index_base_PKT3_PKiS6_iS1_PS2_S6_PiNS_24const_host_device_scalarIS2_EEb
                                        ; -- End function
	.set _ZN9rocsparseL23csr2csr_compress_kernelILi1024ELi128ELi8ELi64EfEEvii21rocsparse_index_base_PKT3_PKiS6_iS1_PS2_S6_PiNS_24const_host_device_scalarIS2_EEb.num_vgpr, 14
	.set _ZN9rocsparseL23csr2csr_compress_kernelILi1024ELi128ELi8ELi64EfEEvii21rocsparse_index_base_PKT3_PKiS6_iS1_PS2_S6_PiNS_24const_host_device_scalarIS2_EEb.num_agpr, 0
	.set _ZN9rocsparseL23csr2csr_compress_kernelILi1024ELi128ELi8ELi64EfEEvii21rocsparse_index_base_PKT3_PKiS6_iS1_PS2_S6_PiNS_24const_host_device_scalarIS2_EEb.numbered_sgpr, 13
	.set _ZN9rocsparseL23csr2csr_compress_kernelILi1024ELi128ELi8ELi64EfEEvii21rocsparse_index_base_PKT3_PKiS6_iS1_PS2_S6_PiNS_24const_host_device_scalarIS2_EEb.num_named_barrier, 0
	.set _ZN9rocsparseL23csr2csr_compress_kernelILi1024ELi128ELi8ELi64EfEEvii21rocsparse_index_base_PKT3_PKiS6_iS1_PS2_S6_PiNS_24const_host_device_scalarIS2_EEb.private_seg_size, 0
	.set _ZN9rocsparseL23csr2csr_compress_kernelILi1024ELi128ELi8ELi64EfEEvii21rocsparse_index_base_PKT3_PKiS6_iS1_PS2_S6_PiNS_24const_host_device_scalarIS2_EEb.uses_vcc, 1
	.set _ZN9rocsparseL23csr2csr_compress_kernelILi1024ELi128ELi8ELi64EfEEvii21rocsparse_index_base_PKT3_PKiS6_iS1_PS2_S6_PiNS_24const_host_device_scalarIS2_EEb.uses_flat_scratch, 0
	.set _ZN9rocsparseL23csr2csr_compress_kernelILi1024ELi128ELi8ELi64EfEEvii21rocsparse_index_base_PKT3_PKiS6_iS1_PS2_S6_PiNS_24const_host_device_scalarIS2_EEb.has_dyn_sized_stack, 0
	.set _ZN9rocsparseL23csr2csr_compress_kernelILi1024ELi128ELi8ELi64EfEEvii21rocsparse_index_base_PKT3_PKiS6_iS1_PS2_S6_PiNS_24const_host_device_scalarIS2_EEb.has_recursion, 0
	.set _ZN9rocsparseL23csr2csr_compress_kernelILi1024ELi128ELi8ELi64EfEEvii21rocsparse_index_base_PKT3_PKiS6_iS1_PS2_S6_PiNS_24const_host_device_scalarIS2_EEb.has_indirect_call, 0
	.section	.AMDGPU.csdata,"",@progbits
; Kernel info:
; codeLenInByte = 600
; TotalNumSgprs: 15
; NumVgprs: 14
; ScratchSize: 0
; MemoryBound: 0
; FloatMode: 240
; IeeeMode: 1
; LDSByteSize: 0 bytes/workgroup (compile time only)
; SGPRBlocks: 0
; VGPRBlocks: 0
; NumSGPRsForWavesPerEU: 15
; NumVGPRsForWavesPerEU: 14
; NamedBarCnt: 0
; Occupancy: 16
; WaveLimiterHint : 0
; COMPUTE_PGM_RSRC2:SCRATCH_EN: 0
; COMPUTE_PGM_RSRC2:USER_SGPR: 2
; COMPUTE_PGM_RSRC2:TRAP_HANDLER: 0
; COMPUTE_PGM_RSRC2:TGID_X_EN: 1
; COMPUTE_PGM_RSRC2:TGID_Y_EN: 0
; COMPUTE_PGM_RSRC2:TGID_Z_EN: 0
; COMPUTE_PGM_RSRC2:TIDIG_COMP_CNT: 0
	.section	.text._ZN9rocsparseL23csr2csr_compress_kernelILi1024ELi64ELi16ELi64EfEEvii21rocsparse_index_base_PKT3_PKiS6_iS1_PS2_S6_PiNS_24const_host_device_scalarIS2_EEb,"axG",@progbits,_ZN9rocsparseL23csr2csr_compress_kernelILi1024ELi64ELi16ELi64EfEEvii21rocsparse_index_base_PKT3_PKiS6_iS1_PS2_S6_PiNS_24const_host_device_scalarIS2_EEb,comdat
	.globl	_ZN9rocsparseL23csr2csr_compress_kernelILi1024ELi64ELi16ELi64EfEEvii21rocsparse_index_base_PKT3_PKiS6_iS1_PS2_S6_PiNS_24const_host_device_scalarIS2_EEb ; -- Begin function _ZN9rocsparseL23csr2csr_compress_kernelILi1024ELi64ELi16ELi64EfEEvii21rocsparse_index_base_PKT3_PKiS6_iS1_PS2_S6_PiNS_24const_host_device_scalarIS2_EEb
	.p2align	8
	.type	_ZN9rocsparseL23csr2csr_compress_kernelILi1024ELi64ELi16ELi64EfEEvii21rocsparse_index_base_PKT3_PKiS6_iS1_PS2_S6_PiNS_24const_host_device_scalarIS2_EEb,@function
_ZN9rocsparseL23csr2csr_compress_kernelILi1024ELi64ELi16ELi64EfEEvii21rocsparse_index_base_PKT3_PKiS6_iS1_PS2_S6_PiNS_24const_host_device_scalarIS2_EEb: ; @_ZN9rocsparseL23csr2csr_compress_kernelILi1024ELi64ELi16ELi64EfEEvii21rocsparse_index_base_PKT3_PKiS6_iS1_PS2_S6_PiNS_24const_host_device_scalarIS2_EEb
; %bb.0:
	s_load_b96 s[8:10], s[0:1], 0x48
	s_wait_kmcnt 0x0
	s_bitcmp1_b32 s10, 0
	s_cselect_b32 s2, -1, 0
	s_delay_alu instid0(SALU_CYCLE_1)
	s_and_b32 vcc_lo, exec_lo, s2
	s_cbranch_vccnz .LBB8_2
; %bb.1:
	s_load_b32 s8, s[8:9], 0x0
.LBB8_2:
	s_nop 0
	s_load_b32 s2, s[0:1], 0x0
	s_bfe_u32 s3, ttmp6, 0x4000c
	s_and_b32 s4, ttmp6, 15
	s_add_co_i32 s3, s3, 1
	s_getreg_b32 s5, hwreg(HW_REG_IB_STS2, 6, 4)
	s_mul_i32 s3, ttmp9, s3
	v_lshrrev_b32_e32 v1, 4, v0
	s_add_co_i32 s4, s4, s3
	s_cmp_eq_u32 s5, 0
	s_cselect_b32 s3, ttmp9, s4
	s_delay_alu instid0(VALU_DEP_1) | instid1(SALU_CYCLE_1)
	v_lshl_or_b32 v4, s3, 6, v1
	s_wait_kmcnt 0x0
	s_delay_alu instid0(VALU_DEP_1)
	v_cmp_gt_i32_e32 vcc_lo, s2, v4
	s_and_saveexec_b32 s2, vcc_lo
	s_cbranch_execz .LBB8_8
; %bb.3:
	s_clause 0x1
	s_load_b64 s[2:3], s[0:1], 0x18
	s_load_b32 s9, s[0:1], 0x8
	v_and_b32_e32 v1, 15, v0
	s_wait_kmcnt 0x0
	s_delay_alu instid0(VALU_DEP_1) | instskip(SKIP_1) | instid1(VALU_DEP_1)
	v_subrev_nc_u32_e32 v6, s9, v1
	v_ashrrev_i32_e32 v5, 31, v4
	v_lshl_add_u64 v[2:3], v[4:5], 2, s[2:3]
	global_load_b64 v[2:3], v[2:3], off
	s_wait_loadcnt 0x0
	v_subrev_nc_u32_e32 v8, s9, v3
	v_add_nc_u32_e32 v2, v2, v6
	s_delay_alu instid0(VALU_DEP_1)
	v_cmp_lt_i32_e32 vcc_lo, v2, v8
	s_and_b32 exec_lo, exec_lo, vcc_lo
	s_cbranch_execz .LBB8_8
; %bb.4:
	s_clause 0x1
	s_load_b128 s[4:7], s[0:1], 0x30
	s_load_b64 s[2:3], s[0:1], 0x40
	v_mbcnt_lo_u32_b32 v7, -1, 0
	s_wait_kmcnt 0x0
	v_lshl_add_u64 v[4:5], v[4:5], 2, s[6:7]
	global_load_b32 v3, v[4:5], off
	s_clause 0x2
	s_load_b32 s12, s[0:1], 0x2c
	s_load_b64 s[6:7], s[0:1], 0x10
	s_load_b64 s[10:11], s[0:1], 0x20
	v_not_b32_e32 v4, v1
	v_dual_mov_b32 v1, 0 :: v_dual_bitop2_b32 v5, 48, v0 bitop3:0x40
	s_wait_xcnt 0x0
	s_mov_b32 s1, 0
	s_delay_alu instid0(VALU_DEP_2) | instskip(NEXT) | instid1(VALU_DEP_1)
	v_lshrrev_b32_e64 v0, v4, -1
	v_lshlrev_b64_e32 v[4:5], v5, v[0:1]
	v_lshl_or_b32 v5, v7, 2, 60
	s_wait_kmcnt 0x0
	s_sub_co_i32 s9, s12, s9
	s_wait_loadcnt 0x0
	v_subrev_nc_u32_e32 v6, s12, v3
	s_branch .LBB8_6
.LBB8_5:                                ;   in Loop: Header=BB8_6 Depth=1
	s_wait_xcnt 0x0
	s_or_b32 exec_lo, exec_lo, s0
	ds_bpermute_b32 v0, v5, v0
	v_add_nc_u32_e32 v2, 16, v2
	s_delay_alu instid0(VALU_DEP_1)
	v_cmp_ge_i32_e32 vcc_lo, v2, v8
	s_or_b32 s1, vcc_lo, s1
	s_wait_dscnt 0x0
	v_add_nc_u32_e32 v6, v0, v6
	s_and_not1_b32 exec_lo, exec_lo, s1
	s_cbranch_execz .LBB8_8
.LBB8_6:                                ; =>This Inner Loop Header: Depth=1
	global_load_b32 v9, v2, s[6:7] scale_offset
	v_ashrrev_i32_e32 v3, 31, v2
	s_wait_loadcnt 0x0
	v_cmp_gt_f32_e32 vcc_lo, 0, v9
	v_cndmask_b32_e64 v0, v9, -v9, vcc_lo
	s_delay_alu instid0(VALU_DEP_1) | instskip(SKIP_2) | instid1(SALU_CYCLE_1)
	v_cmp_lt_f32_e32 vcc_lo, s8, v0
	v_cmp_lt_f32_e64 s0, 0x800000, v0
	s_and_b32 s12, vcc_lo, s0
	v_cndmask_b32_e64 v0, 0, 1, s12
	s_delay_alu instid0(VALU_DEP_1) | instskip(SKIP_1) | instid1(VALU_DEP_1)
	v_cmp_ne_u32_e32 vcc_lo, 0, v0
	v_and_b32_e32 v0, vcc_lo, v4
	v_bcnt_u32_b32 v0, v0, 0
	s_wait_xcnt 0x0
	s_and_saveexec_b32 s0, s12
	s_cbranch_execz .LBB8_5
; %bb.7:                                ;   in Loop: Header=BB8_6 Depth=1
	v_lshl_add_u64 v[10:11], v[2:3], 2, s[10:11]
	global_load_b32 v3, v[10:11], off
	s_wait_loadcnt 0x0
	v_dual_ashrrev_i32 v7, 31, v6 :: v_dual_add_nc_u32 v3, s9, v3
	s_wait_xcnt 0x0
	s_delay_alu instid0(VALU_DEP_1) | instskip(NEXT) | instid1(VALU_DEP_1)
	v_add_nc_u64_e32 v[10:11], v[6:7], v[0:1]
	v_lshlrev_b64_e32 v[10:11], 2, v[10:11]
	s_delay_alu instid0(VALU_DEP_1)
	v_add_nc_u64_e32 v[12:13], s[4:5], v[10:11]
	v_add_nc_u64_e32 v[10:11], s[2:3], v[10:11]
	global_store_b32 v[12:13], v9, off offset:-4
	global_store_b32 v[10:11], v3, off offset:-4
	s_branch .LBB8_5
.LBB8_8:
	s_endpgm
	.section	.rodata,"a",@progbits
	.p2align	6, 0x0
	.amdhsa_kernel _ZN9rocsparseL23csr2csr_compress_kernelILi1024ELi64ELi16ELi64EfEEvii21rocsparse_index_base_PKT3_PKiS6_iS1_PS2_S6_PiNS_24const_host_device_scalarIS2_EEb
		.amdhsa_group_segment_fixed_size 0
		.amdhsa_private_segment_fixed_size 0
		.amdhsa_kernarg_size 84
		.amdhsa_user_sgpr_count 2
		.amdhsa_user_sgpr_dispatch_ptr 0
		.amdhsa_user_sgpr_queue_ptr 0
		.amdhsa_user_sgpr_kernarg_segment_ptr 1
		.amdhsa_user_sgpr_dispatch_id 0
		.amdhsa_user_sgpr_kernarg_preload_length 0
		.amdhsa_user_sgpr_kernarg_preload_offset 0
		.amdhsa_user_sgpr_private_segment_size 0
		.amdhsa_wavefront_size32 1
		.amdhsa_uses_dynamic_stack 0
		.amdhsa_enable_private_segment 0
		.amdhsa_system_sgpr_workgroup_id_x 1
		.amdhsa_system_sgpr_workgroup_id_y 0
		.amdhsa_system_sgpr_workgroup_id_z 0
		.amdhsa_system_sgpr_workgroup_info 0
		.amdhsa_system_vgpr_workitem_id 0
		.amdhsa_next_free_vgpr 14
		.amdhsa_next_free_sgpr 13
		.amdhsa_named_barrier_count 0
		.amdhsa_reserve_vcc 1
		.amdhsa_float_round_mode_32 0
		.amdhsa_float_round_mode_16_64 0
		.amdhsa_float_denorm_mode_32 3
		.amdhsa_float_denorm_mode_16_64 3
		.amdhsa_fp16_overflow 0
		.amdhsa_memory_ordered 1
		.amdhsa_forward_progress 1
		.amdhsa_inst_pref_size 5
		.amdhsa_round_robin_scheduling 0
		.amdhsa_exception_fp_ieee_invalid_op 0
		.amdhsa_exception_fp_denorm_src 0
		.amdhsa_exception_fp_ieee_div_zero 0
		.amdhsa_exception_fp_ieee_overflow 0
		.amdhsa_exception_fp_ieee_underflow 0
		.amdhsa_exception_fp_ieee_inexact 0
		.amdhsa_exception_int_div_zero 0
	.end_amdhsa_kernel
	.section	.text._ZN9rocsparseL23csr2csr_compress_kernelILi1024ELi64ELi16ELi64EfEEvii21rocsparse_index_base_PKT3_PKiS6_iS1_PS2_S6_PiNS_24const_host_device_scalarIS2_EEb,"axG",@progbits,_ZN9rocsparseL23csr2csr_compress_kernelILi1024ELi64ELi16ELi64EfEEvii21rocsparse_index_base_PKT3_PKiS6_iS1_PS2_S6_PiNS_24const_host_device_scalarIS2_EEb,comdat
.Lfunc_end8:
	.size	_ZN9rocsparseL23csr2csr_compress_kernelILi1024ELi64ELi16ELi64EfEEvii21rocsparse_index_base_PKT3_PKiS6_iS1_PS2_S6_PiNS_24const_host_device_scalarIS2_EEb, .Lfunc_end8-_ZN9rocsparseL23csr2csr_compress_kernelILi1024ELi64ELi16ELi64EfEEvii21rocsparse_index_base_PKT3_PKiS6_iS1_PS2_S6_PiNS_24const_host_device_scalarIS2_EEb
                                        ; -- End function
	.set _ZN9rocsparseL23csr2csr_compress_kernelILi1024ELi64ELi16ELi64EfEEvii21rocsparse_index_base_PKT3_PKiS6_iS1_PS2_S6_PiNS_24const_host_device_scalarIS2_EEb.num_vgpr, 14
	.set _ZN9rocsparseL23csr2csr_compress_kernelILi1024ELi64ELi16ELi64EfEEvii21rocsparse_index_base_PKT3_PKiS6_iS1_PS2_S6_PiNS_24const_host_device_scalarIS2_EEb.num_agpr, 0
	.set _ZN9rocsparseL23csr2csr_compress_kernelILi1024ELi64ELi16ELi64EfEEvii21rocsparse_index_base_PKT3_PKiS6_iS1_PS2_S6_PiNS_24const_host_device_scalarIS2_EEb.numbered_sgpr, 13
	.set _ZN9rocsparseL23csr2csr_compress_kernelILi1024ELi64ELi16ELi64EfEEvii21rocsparse_index_base_PKT3_PKiS6_iS1_PS2_S6_PiNS_24const_host_device_scalarIS2_EEb.num_named_barrier, 0
	.set _ZN9rocsparseL23csr2csr_compress_kernelILi1024ELi64ELi16ELi64EfEEvii21rocsparse_index_base_PKT3_PKiS6_iS1_PS2_S6_PiNS_24const_host_device_scalarIS2_EEb.private_seg_size, 0
	.set _ZN9rocsparseL23csr2csr_compress_kernelILi1024ELi64ELi16ELi64EfEEvii21rocsparse_index_base_PKT3_PKiS6_iS1_PS2_S6_PiNS_24const_host_device_scalarIS2_EEb.uses_vcc, 1
	.set _ZN9rocsparseL23csr2csr_compress_kernelILi1024ELi64ELi16ELi64EfEEvii21rocsparse_index_base_PKT3_PKiS6_iS1_PS2_S6_PiNS_24const_host_device_scalarIS2_EEb.uses_flat_scratch, 0
	.set _ZN9rocsparseL23csr2csr_compress_kernelILi1024ELi64ELi16ELi64EfEEvii21rocsparse_index_base_PKT3_PKiS6_iS1_PS2_S6_PiNS_24const_host_device_scalarIS2_EEb.has_dyn_sized_stack, 0
	.set _ZN9rocsparseL23csr2csr_compress_kernelILi1024ELi64ELi16ELi64EfEEvii21rocsparse_index_base_PKT3_PKiS6_iS1_PS2_S6_PiNS_24const_host_device_scalarIS2_EEb.has_recursion, 0
	.set _ZN9rocsparseL23csr2csr_compress_kernelILi1024ELi64ELi16ELi64EfEEvii21rocsparse_index_base_PKT3_PKiS6_iS1_PS2_S6_PiNS_24const_host_device_scalarIS2_EEb.has_indirect_call, 0
	.section	.AMDGPU.csdata,"",@progbits
; Kernel info:
; codeLenInByte = 600
; TotalNumSgprs: 15
; NumVgprs: 14
; ScratchSize: 0
; MemoryBound: 0
; FloatMode: 240
; IeeeMode: 1
; LDSByteSize: 0 bytes/workgroup (compile time only)
; SGPRBlocks: 0
; VGPRBlocks: 0
; NumSGPRsForWavesPerEU: 15
; NumVGPRsForWavesPerEU: 14
; NamedBarCnt: 0
; Occupancy: 16
; WaveLimiterHint : 0
; COMPUTE_PGM_RSRC2:SCRATCH_EN: 0
; COMPUTE_PGM_RSRC2:USER_SGPR: 2
; COMPUTE_PGM_RSRC2:TRAP_HANDLER: 0
; COMPUTE_PGM_RSRC2:TGID_X_EN: 1
; COMPUTE_PGM_RSRC2:TGID_Y_EN: 0
; COMPUTE_PGM_RSRC2:TGID_Z_EN: 0
; COMPUTE_PGM_RSRC2:TIDIG_COMP_CNT: 0
	.section	.text._ZN9rocsparseL23csr2csr_compress_kernelILi1024ELi32ELi32ELi64EfEEvii21rocsparse_index_base_PKT3_PKiS6_iS1_PS2_S6_PiNS_24const_host_device_scalarIS2_EEb,"axG",@progbits,_ZN9rocsparseL23csr2csr_compress_kernelILi1024ELi32ELi32ELi64EfEEvii21rocsparse_index_base_PKT3_PKiS6_iS1_PS2_S6_PiNS_24const_host_device_scalarIS2_EEb,comdat
	.globl	_ZN9rocsparseL23csr2csr_compress_kernelILi1024ELi32ELi32ELi64EfEEvii21rocsparse_index_base_PKT3_PKiS6_iS1_PS2_S6_PiNS_24const_host_device_scalarIS2_EEb ; -- Begin function _ZN9rocsparseL23csr2csr_compress_kernelILi1024ELi32ELi32ELi64EfEEvii21rocsparse_index_base_PKT3_PKiS6_iS1_PS2_S6_PiNS_24const_host_device_scalarIS2_EEb
	.p2align	8
	.type	_ZN9rocsparseL23csr2csr_compress_kernelILi1024ELi32ELi32ELi64EfEEvii21rocsparse_index_base_PKT3_PKiS6_iS1_PS2_S6_PiNS_24const_host_device_scalarIS2_EEb,@function
_ZN9rocsparseL23csr2csr_compress_kernelILi1024ELi32ELi32ELi64EfEEvii21rocsparse_index_base_PKT3_PKiS6_iS1_PS2_S6_PiNS_24const_host_device_scalarIS2_EEb: ; @_ZN9rocsparseL23csr2csr_compress_kernelILi1024ELi32ELi32ELi64EfEEvii21rocsparse_index_base_PKT3_PKiS6_iS1_PS2_S6_PiNS_24const_host_device_scalarIS2_EEb
; %bb.0:
	s_load_b96 s[8:10], s[0:1], 0x48
	s_wait_kmcnt 0x0
	s_bitcmp1_b32 s10, 0
	s_cselect_b32 s2, -1, 0
	s_delay_alu instid0(SALU_CYCLE_1)
	s_and_b32 vcc_lo, exec_lo, s2
	s_cbranch_vccnz .LBB9_2
; %bb.1:
	s_load_b32 s8, s[8:9], 0x0
.LBB9_2:
	s_nop 0
	s_load_b32 s2, s[0:1], 0x0
	s_bfe_u32 s3, ttmp6, 0x4000c
	s_and_b32 s4, ttmp6, 15
	s_add_co_i32 s3, s3, 1
	s_getreg_b32 s5, hwreg(HW_REG_IB_STS2, 6, 4)
	s_mul_i32 s3, ttmp9, s3
	v_lshrrev_b32_e32 v1, 5, v0
	s_add_co_i32 s4, s4, s3
	s_cmp_eq_u32 s5, 0
	s_cselect_b32 s3, ttmp9, s4
	s_delay_alu instid0(VALU_DEP_1) | instid1(SALU_CYCLE_1)
	v_lshl_or_b32 v4, s3, 5, v1
	s_wait_kmcnt 0x0
	s_delay_alu instid0(VALU_DEP_1)
	v_cmp_gt_i32_e32 vcc_lo, s2, v4
	s_and_saveexec_b32 s2, vcc_lo
	s_cbranch_execz .LBB9_8
; %bb.3:
	s_clause 0x1
	s_load_b64 s[2:3], s[0:1], 0x18
	s_load_b32 s9, s[0:1], 0x8
	v_and_b32_e32 v1, 31, v0
	s_wait_kmcnt 0x0
	s_delay_alu instid0(VALU_DEP_1) | instskip(SKIP_1) | instid1(VALU_DEP_1)
	v_subrev_nc_u32_e32 v6, s9, v1
	v_ashrrev_i32_e32 v5, 31, v4
	v_lshl_add_u64 v[2:3], v[4:5], 2, s[2:3]
	global_load_b64 v[2:3], v[2:3], off
	s_wait_loadcnt 0x0
	v_subrev_nc_u32_e32 v8, s9, v3
	v_add_nc_u32_e32 v2, v2, v6
	s_delay_alu instid0(VALU_DEP_1)
	v_cmp_lt_i32_e32 vcc_lo, v2, v8
	s_and_b32 exec_lo, exec_lo, vcc_lo
	s_cbranch_execz .LBB9_8
; %bb.4:
	s_clause 0x1
	s_load_b128 s[4:7], s[0:1], 0x30
	s_load_b64 s[2:3], s[0:1], 0x40
	s_wait_kmcnt 0x0
	v_lshl_add_u64 v[4:5], v[4:5], 2, s[6:7]
	global_load_b32 v3, v[4:5], off
	s_clause 0x2
	s_load_b32 s12, s[0:1], 0x2c
	s_load_b64 s[6:7], s[0:1], 0x10
	s_load_b64 s[10:11], s[0:1], 0x20
	v_dual_mov_b32 v1, 0 :: v_dual_bitop2_b32 v4, 31, v1 bitop3:0x14
	v_and_b32_e32 v5, 32, v0
	s_wait_xcnt 0x0
	s_mov_b32 s1, 0
	s_delay_alu instid0(VALU_DEP_2) | instskip(NEXT) | instid1(VALU_DEP_1)
	v_lshrrev_b32_e64 v0, v4, -1
	v_lshlrev_b64_e32 v[4:5], v5, v[0:1]
	v_mov_b32_e32 v5, 0x7c
	s_wait_kmcnt 0x0
	s_sub_co_i32 s9, s12, s9
	s_wait_loadcnt 0x0
	v_subrev_nc_u32_e32 v6, s12, v3
	s_branch .LBB9_6
.LBB9_5:                                ;   in Loop: Header=BB9_6 Depth=1
	s_wait_xcnt 0x0
	s_or_b32 exec_lo, exec_lo, s0
	ds_bpermute_b32 v0, v5, v0
	v_add_nc_u32_e32 v2, 32, v2
	s_delay_alu instid0(VALU_DEP_1)
	v_cmp_ge_i32_e32 vcc_lo, v2, v8
	s_or_b32 s1, vcc_lo, s1
	s_wait_dscnt 0x0
	v_add_nc_u32_e32 v6, v0, v6
	s_and_not1_b32 exec_lo, exec_lo, s1
	s_cbranch_execz .LBB9_8
.LBB9_6:                                ; =>This Inner Loop Header: Depth=1
	global_load_b32 v9, v2, s[6:7] scale_offset
	v_ashrrev_i32_e32 v3, 31, v2
	s_wait_loadcnt 0x0
	v_cmp_gt_f32_e32 vcc_lo, 0, v9
	v_cndmask_b32_e64 v0, v9, -v9, vcc_lo
	s_delay_alu instid0(VALU_DEP_1) | instskip(SKIP_2) | instid1(SALU_CYCLE_1)
	v_cmp_lt_f32_e32 vcc_lo, s8, v0
	v_cmp_lt_f32_e64 s0, 0x800000, v0
	s_and_b32 s12, vcc_lo, s0
	v_cndmask_b32_e64 v0, 0, 1, s12
	s_delay_alu instid0(VALU_DEP_1) | instskip(SKIP_1) | instid1(VALU_DEP_1)
	v_cmp_ne_u32_e32 vcc_lo, 0, v0
	v_and_b32_e32 v0, vcc_lo, v4
	v_bcnt_u32_b32 v0, v0, 0
	s_wait_xcnt 0x0
	s_and_saveexec_b32 s0, s12
	s_cbranch_execz .LBB9_5
; %bb.7:                                ;   in Loop: Header=BB9_6 Depth=1
	v_lshl_add_u64 v[10:11], v[2:3], 2, s[10:11]
	global_load_b32 v3, v[10:11], off
	s_wait_loadcnt 0x0
	v_dual_ashrrev_i32 v7, 31, v6 :: v_dual_add_nc_u32 v3, s9, v3
	s_wait_xcnt 0x0
	s_delay_alu instid0(VALU_DEP_1) | instskip(NEXT) | instid1(VALU_DEP_1)
	v_add_nc_u64_e32 v[10:11], v[6:7], v[0:1]
	v_lshlrev_b64_e32 v[10:11], 2, v[10:11]
	s_delay_alu instid0(VALU_DEP_1)
	v_add_nc_u64_e32 v[12:13], s[4:5], v[10:11]
	v_add_nc_u64_e32 v[10:11], s[2:3], v[10:11]
	global_store_b32 v[12:13], v9, off offset:-4
	global_store_b32 v[10:11], v3, off offset:-4
	s_branch .LBB9_5
.LBB9_8:
	s_endpgm
	.section	.rodata,"a",@progbits
	.p2align	6, 0x0
	.amdhsa_kernel _ZN9rocsparseL23csr2csr_compress_kernelILi1024ELi32ELi32ELi64EfEEvii21rocsparse_index_base_PKT3_PKiS6_iS1_PS2_S6_PiNS_24const_host_device_scalarIS2_EEb
		.amdhsa_group_segment_fixed_size 0
		.amdhsa_private_segment_fixed_size 0
		.amdhsa_kernarg_size 84
		.amdhsa_user_sgpr_count 2
		.amdhsa_user_sgpr_dispatch_ptr 0
		.amdhsa_user_sgpr_queue_ptr 0
		.amdhsa_user_sgpr_kernarg_segment_ptr 1
		.amdhsa_user_sgpr_dispatch_id 0
		.amdhsa_user_sgpr_kernarg_preload_length 0
		.amdhsa_user_sgpr_kernarg_preload_offset 0
		.amdhsa_user_sgpr_private_segment_size 0
		.amdhsa_wavefront_size32 1
		.amdhsa_uses_dynamic_stack 0
		.amdhsa_enable_private_segment 0
		.amdhsa_system_sgpr_workgroup_id_x 1
		.amdhsa_system_sgpr_workgroup_id_y 0
		.amdhsa_system_sgpr_workgroup_id_z 0
		.amdhsa_system_sgpr_workgroup_info 0
		.amdhsa_system_vgpr_workitem_id 0
		.amdhsa_next_free_vgpr 14
		.amdhsa_next_free_sgpr 13
		.amdhsa_named_barrier_count 0
		.amdhsa_reserve_vcc 1
		.amdhsa_float_round_mode_32 0
		.amdhsa_float_round_mode_16_64 0
		.amdhsa_float_denorm_mode_32 3
		.amdhsa_float_denorm_mode_16_64 3
		.amdhsa_fp16_overflow 0
		.amdhsa_memory_ordered 1
		.amdhsa_forward_progress 1
		.amdhsa_inst_pref_size 5
		.amdhsa_round_robin_scheduling 0
		.amdhsa_exception_fp_ieee_invalid_op 0
		.amdhsa_exception_fp_denorm_src 0
		.amdhsa_exception_fp_ieee_div_zero 0
		.amdhsa_exception_fp_ieee_overflow 0
		.amdhsa_exception_fp_ieee_underflow 0
		.amdhsa_exception_fp_ieee_inexact 0
		.amdhsa_exception_int_div_zero 0
	.end_amdhsa_kernel
	.section	.text._ZN9rocsparseL23csr2csr_compress_kernelILi1024ELi32ELi32ELi64EfEEvii21rocsparse_index_base_PKT3_PKiS6_iS1_PS2_S6_PiNS_24const_host_device_scalarIS2_EEb,"axG",@progbits,_ZN9rocsparseL23csr2csr_compress_kernelILi1024ELi32ELi32ELi64EfEEvii21rocsparse_index_base_PKT3_PKiS6_iS1_PS2_S6_PiNS_24const_host_device_scalarIS2_EEb,comdat
.Lfunc_end9:
	.size	_ZN9rocsparseL23csr2csr_compress_kernelILi1024ELi32ELi32ELi64EfEEvii21rocsparse_index_base_PKT3_PKiS6_iS1_PS2_S6_PiNS_24const_host_device_scalarIS2_EEb, .Lfunc_end9-_ZN9rocsparseL23csr2csr_compress_kernelILi1024ELi32ELi32ELi64EfEEvii21rocsparse_index_base_PKT3_PKiS6_iS1_PS2_S6_PiNS_24const_host_device_scalarIS2_EEb
                                        ; -- End function
	.set _ZN9rocsparseL23csr2csr_compress_kernelILi1024ELi32ELi32ELi64EfEEvii21rocsparse_index_base_PKT3_PKiS6_iS1_PS2_S6_PiNS_24const_host_device_scalarIS2_EEb.num_vgpr, 14
	.set _ZN9rocsparseL23csr2csr_compress_kernelILi1024ELi32ELi32ELi64EfEEvii21rocsparse_index_base_PKT3_PKiS6_iS1_PS2_S6_PiNS_24const_host_device_scalarIS2_EEb.num_agpr, 0
	.set _ZN9rocsparseL23csr2csr_compress_kernelILi1024ELi32ELi32ELi64EfEEvii21rocsparse_index_base_PKT3_PKiS6_iS1_PS2_S6_PiNS_24const_host_device_scalarIS2_EEb.numbered_sgpr, 13
	.set _ZN9rocsparseL23csr2csr_compress_kernelILi1024ELi32ELi32ELi64EfEEvii21rocsparse_index_base_PKT3_PKiS6_iS1_PS2_S6_PiNS_24const_host_device_scalarIS2_EEb.num_named_barrier, 0
	.set _ZN9rocsparseL23csr2csr_compress_kernelILi1024ELi32ELi32ELi64EfEEvii21rocsparse_index_base_PKT3_PKiS6_iS1_PS2_S6_PiNS_24const_host_device_scalarIS2_EEb.private_seg_size, 0
	.set _ZN9rocsparseL23csr2csr_compress_kernelILi1024ELi32ELi32ELi64EfEEvii21rocsparse_index_base_PKT3_PKiS6_iS1_PS2_S6_PiNS_24const_host_device_scalarIS2_EEb.uses_vcc, 1
	.set _ZN9rocsparseL23csr2csr_compress_kernelILi1024ELi32ELi32ELi64EfEEvii21rocsparse_index_base_PKT3_PKiS6_iS1_PS2_S6_PiNS_24const_host_device_scalarIS2_EEb.uses_flat_scratch, 0
	.set _ZN9rocsparseL23csr2csr_compress_kernelILi1024ELi32ELi32ELi64EfEEvii21rocsparse_index_base_PKT3_PKiS6_iS1_PS2_S6_PiNS_24const_host_device_scalarIS2_EEb.has_dyn_sized_stack, 0
	.set _ZN9rocsparseL23csr2csr_compress_kernelILi1024ELi32ELi32ELi64EfEEvii21rocsparse_index_base_PKT3_PKiS6_iS1_PS2_S6_PiNS_24const_host_device_scalarIS2_EEb.has_recursion, 0
	.set _ZN9rocsparseL23csr2csr_compress_kernelILi1024ELi32ELi32ELi64EfEEvii21rocsparse_index_base_PKT3_PKiS6_iS1_PS2_S6_PiNS_24const_host_device_scalarIS2_EEb.has_indirect_call, 0
	.section	.AMDGPU.csdata,"",@progbits
; Kernel info:
; codeLenInByte = 592
; TotalNumSgprs: 15
; NumVgprs: 14
; ScratchSize: 0
; MemoryBound: 0
; FloatMode: 240
; IeeeMode: 1
; LDSByteSize: 0 bytes/workgroup (compile time only)
; SGPRBlocks: 0
; VGPRBlocks: 0
; NumSGPRsForWavesPerEU: 15
; NumVGPRsForWavesPerEU: 14
; NamedBarCnt: 0
; Occupancy: 16
; WaveLimiterHint : 0
; COMPUTE_PGM_RSRC2:SCRATCH_EN: 0
; COMPUTE_PGM_RSRC2:USER_SGPR: 2
; COMPUTE_PGM_RSRC2:TRAP_HANDLER: 0
; COMPUTE_PGM_RSRC2:TGID_X_EN: 1
; COMPUTE_PGM_RSRC2:TGID_Y_EN: 0
; COMPUTE_PGM_RSRC2:TGID_Z_EN: 0
; COMPUTE_PGM_RSRC2:TIDIG_COMP_CNT: 0
	.section	.text._ZN9rocsparseL23csr2csr_compress_kernelILi1024ELi16ELi64ELi64EfEEvii21rocsparse_index_base_PKT3_PKiS6_iS1_PS2_S6_PiNS_24const_host_device_scalarIS2_EEb,"axG",@progbits,_ZN9rocsparseL23csr2csr_compress_kernelILi1024ELi16ELi64ELi64EfEEvii21rocsparse_index_base_PKT3_PKiS6_iS1_PS2_S6_PiNS_24const_host_device_scalarIS2_EEb,comdat
	.globl	_ZN9rocsparseL23csr2csr_compress_kernelILi1024ELi16ELi64ELi64EfEEvii21rocsparse_index_base_PKT3_PKiS6_iS1_PS2_S6_PiNS_24const_host_device_scalarIS2_EEb ; -- Begin function _ZN9rocsparseL23csr2csr_compress_kernelILi1024ELi16ELi64ELi64EfEEvii21rocsparse_index_base_PKT3_PKiS6_iS1_PS2_S6_PiNS_24const_host_device_scalarIS2_EEb
	.p2align	8
	.type	_ZN9rocsparseL23csr2csr_compress_kernelILi1024ELi16ELi64ELi64EfEEvii21rocsparse_index_base_PKT3_PKiS6_iS1_PS2_S6_PiNS_24const_host_device_scalarIS2_EEb,@function
_ZN9rocsparseL23csr2csr_compress_kernelILi1024ELi16ELi64ELi64EfEEvii21rocsparse_index_base_PKT3_PKiS6_iS1_PS2_S6_PiNS_24const_host_device_scalarIS2_EEb: ; @_ZN9rocsparseL23csr2csr_compress_kernelILi1024ELi16ELi64ELi64EfEEvii21rocsparse_index_base_PKT3_PKiS6_iS1_PS2_S6_PiNS_24const_host_device_scalarIS2_EEb
; %bb.0:
	s_load_b96 s[8:10], s[0:1], 0x48
	s_wait_kmcnt 0x0
	s_bitcmp1_b32 s10, 0
	s_cselect_b32 s2, -1, 0
	s_delay_alu instid0(SALU_CYCLE_1)
	s_and_b32 vcc_lo, exec_lo, s2
	s_cbranch_vccnz .LBB10_2
; %bb.1:
	s_load_b32 s8, s[8:9], 0x0
.LBB10_2:
	s_nop 0
	s_load_b32 s2, s[0:1], 0x0
	s_bfe_u32 s3, ttmp6, 0x4000c
	s_and_b32 s4, ttmp6, 15
	s_add_co_i32 s3, s3, 1
	s_getreg_b32 s5, hwreg(HW_REG_IB_STS2, 6, 4)
	s_mul_i32 s3, ttmp9, s3
	v_lshrrev_b32_e32 v1, 6, v0
	s_add_co_i32 s4, s4, s3
	s_cmp_eq_u32 s5, 0
	s_cselect_b32 s3, ttmp9, s4
	s_delay_alu instid0(VALU_DEP_1) | instid1(SALU_CYCLE_1)
	v_lshl_or_b32 v2, s3, 4, v1
	s_wait_kmcnt 0x0
	s_delay_alu instid0(VALU_DEP_1)
	v_cmp_gt_i32_e32 vcc_lo, s2, v2
	s_and_saveexec_b32 s2, vcc_lo
	s_cbranch_execz .LBB10_8
; %bb.3:
	s_clause 0x1
	s_load_b64 s[2:3], s[0:1], 0x18
	s_load_b32 s9, s[0:1], 0x8
	v_dual_ashrrev_i32 v3, 31, v2 :: v_dual_bitop2_b32 v1, 63, v0 bitop3:0x40
	s_wait_kmcnt 0x0
	s_delay_alu instid0(VALU_DEP_1) | instskip(NEXT) | instid1(VALU_DEP_2)
	v_lshl_add_u64 v[4:5], v[2:3], 2, s[2:3]
	v_subrev_nc_u32_e32 v0, s9, v1
	global_load_b64 v[4:5], v[4:5], off
	s_wait_loadcnt 0x0
	v_subrev_nc_u32_e32 v8, s9, v5
	v_add_nc_u32_e32 v0, v4, v0
	s_delay_alu instid0(VALU_DEP_1)
	v_cmp_lt_i32_e32 vcc_lo, v0, v8
	s_and_b32 exec_lo, exec_lo, vcc_lo
	s_cbranch_execz .LBB10_8
; %bb.4:
	s_clause 0x1
	s_load_b128 s[4:7], s[0:1], 0x30
	s_load_b64 s[2:3], s[0:1], 0x40
	v_dual_mov_b32 v7, 0 :: v_dual_bitop2_b32 v1, 63, v1 bitop3:0x14
	v_bfrev_b32_e32 v9, 0.5
	s_wait_kmcnt 0x0
	v_lshl_add_u64 v[2:3], v[2:3], 2, s[6:7]
	global_load_b32 v4, v[2:3], off
	s_clause 0x2
	s_load_b32 s12, s[0:1], 0x2c
	s_load_b64 s[6:7], s[0:1], 0x10
	s_load_b64 s[10:11], s[0:1], 0x20
	v_lshrrev_b64 v[2:3], v1, -1
	s_wait_kmcnt 0x0
	s_sub_co_i32 s1, s12, s9
	s_mov_b32 s9, 0
	s_wait_loadcnt 0x0
	v_subrev_nc_u32_e32 v4, s12, v4
	s_branch .LBB10_6
.LBB10_5:                               ;   in Loop: Header=BB10_6 Depth=1
	s_wait_xcnt 0x0
	s_or_b32 exec_lo, exec_lo, s0
	ds_bpermute_b32 v1, v9, v6
	v_add_nc_u32_e32 v0, 64, v0
	s_delay_alu instid0(VALU_DEP_1)
	v_cmp_ge_i32_e32 vcc_lo, v0, v8
	s_or_b32 s9, vcc_lo, s9
	s_wait_dscnt 0x0
	v_add_nc_u32_e32 v4, v1, v4
	s_and_not1_b32 exec_lo, exec_lo, s9
	s_cbranch_execz .LBB10_8
.LBB10_6:                               ; =>This Inner Loop Header: Depth=1
	global_load_b32 v3, v0, s[6:7] scale_offset
	s_wait_loadcnt 0x0
	v_cmp_gt_f32_e32 vcc_lo, 0, v3
	v_cndmask_b32_e64 v1, v3, -v3, vcc_lo
	s_delay_alu instid0(VALU_DEP_1) | instskip(SKIP_2) | instid1(SALU_CYCLE_1)
	v_cmp_lt_f32_e32 vcc_lo, s8, v1
	v_cmp_lt_f32_e64 s0, 0x800000, v1
	s_and_b32 s12, vcc_lo, s0
	v_cndmask_b32_e64 v1, 0, 1, s12
	s_delay_alu instid0(VALU_DEP_1) | instskip(SKIP_1) | instid1(VALU_DEP_1)
	v_cmp_ne_u32_e32 vcc_lo, 0, v1
	v_dual_ashrrev_i32 v1, 31, v0 :: v_dual_bitop2_b32 v5, vcc_lo, v2 bitop3:0x40
	v_bcnt_u32_b32 v6, v5, 0
	s_wait_xcnt 0x0
	s_and_saveexec_b32 s0, s12
	s_cbranch_execz .LBB10_5
; %bb.7:                                ;   in Loop: Header=BB10_6 Depth=1
	v_lshl_add_u64 v[10:11], v[0:1], 2, s[10:11]
	global_load_b32 v1, v[10:11], off
	s_wait_loadcnt 0x0
	v_dual_ashrrev_i32 v5, 31, v4 :: v_dual_add_nc_u32 v1, s1, v1
	s_wait_xcnt 0x0
	s_delay_alu instid0(VALU_DEP_1) | instskip(NEXT) | instid1(VALU_DEP_1)
	v_add_nc_u64_e32 v[10:11], v[4:5], v[6:7]
	v_lshlrev_b64_e32 v[10:11], 2, v[10:11]
	s_delay_alu instid0(VALU_DEP_1)
	v_add_nc_u64_e32 v[12:13], s[4:5], v[10:11]
	v_add_nc_u64_e32 v[10:11], s[2:3], v[10:11]
	global_store_b32 v[12:13], v3, off offset:-4
	global_store_b32 v[10:11], v1, off offset:-4
	s_branch .LBB10_5
.LBB10_8:
	s_endpgm
	.section	.rodata,"a",@progbits
	.p2align	6, 0x0
	.amdhsa_kernel _ZN9rocsparseL23csr2csr_compress_kernelILi1024ELi16ELi64ELi64EfEEvii21rocsparse_index_base_PKT3_PKiS6_iS1_PS2_S6_PiNS_24const_host_device_scalarIS2_EEb
		.amdhsa_group_segment_fixed_size 0
		.amdhsa_private_segment_fixed_size 0
		.amdhsa_kernarg_size 84
		.amdhsa_user_sgpr_count 2
		.amdhsa_user_sgpr_dispatch_ptr 0
		.amdhsa_user_sgpr_queue_ptr 0
		.amdhsa_user_sgpr_kernarg_segment_ptr 1
		.amdhsa_user_sgpr_dispatch_id 0
		.amdhsa_user_sgpr_kernarg_preload_length 0
		.amdhsa_user_sgpr_kernarg_preload_offset 0
		.amdhsa_user_sgpr_private_segment_size 0
		.amdhsa_wavefront_size32 1
		.amdhsa_uses_dynamic_stack 0
		.amdhsa_enable_private_segment 0
		.amdhsa_system_sgpr_workgroup_id_x 1
		.amdhsa_system_sgpr_workgroup_id_y 0
		.amdhsa_system_sgpr_workgroup_id_z 0
		.amdhsa_system_sgpr_workgroup_info 0
		.amdhsa_system_vgpr_workitem_id 0
		.amdhsa_next_free_vgpr 14
		.amdhsa_next_free_sgpr 13
		.amdhsa_named_barrier_count 0
		.amdhsa_reserve_vcc 1
		.amdhsa_float_round_mode_32 0
		.amdhsa_float_round_mode_16_64 0
		.amdhsa_float_denorm_mode_32 3
		.amdhsa_float_denorm_mode_16_64 3
		.amdhsa_fp16_overflow 0
		.amdhsa_memory_ordered 1
		.amdhsa_forward_progress 1
		.amdhsa_inst_pref_size 5
		.amdhsa_round_robin_scheduling 0
		.amdhsa_exception_fp_ieee_invalid_op 0
		.amdhsa_exception_fp_denorm_src 0
		.amdhsa_exception_fp_ieee_div_zero 0
		.amdhsa_exception_fp_ieee_overflow 0
		.amdhsa_exception_fp_ieee_underflow 0
		.amdhsa_exception_fp_ieee_inexact 0
		.amdhsa_exception_int_div_zero 0
	.end_amdhsa_kernel
	.section	.text._ZN9rocsparseL23csr2csr_compress_kernelILi1024ELi16ELi64ELi64EfEEvii21rocsparse_index_base_PKT3_PKiS6_iS1_PS2_S6_PiNS_24const_host_device_scalarIS2_EEb,"axG",@progbits,_ZN9rocsparseL23csr2csr_compress_kernelILi1024ELi16ELi64ELi64EfEEvii21rocsparse_index_base_PKT3_PKiS6_iS1_PS2_S6_PiNS_24const_host_device_scalarIS2_EEb,comdat
.Lfunc_end10:
	.size	_ZN9rocsparseL23csr2csr_compress_kernelILi1024ELi16ELi64ELi64EfEEvii21rocsparse_index_base_PKT3_PKiS6_iS1_PS2_S6_PiNS_24const_host_device_scalarIS2_EEb, .Lfunc_end10-_ZN9rocsparseL23csr2csr_compress_kernelILi1024ELi16ELi64ELi64EfEEvii21rocsparse_index_base_PKT3_PKiS6_iS1_PS2_S6_PiNS_24const_host_device_scalarIS2_EEb
                                        ; -- End function
	.set _ZN9rocsparseL23csr2csr_compress_kernelILi1024ELi16ELi64ELi64EfEEvii21rocsparse_index_base_PKT3_PKiS6_iS1_PS2_S6_PiNS_24const_host_device_scalarIS2_EEb.num_vgpr, 14
	.set _ZN9rocsparseL23csr2csr_compress_kernelILi1024ELi16ELi64ELi64EfEEvii21rocsparse_index_base_PKT3_PKiS6_iS1_PS2_S6_PiNS_24const_host_device_scalarIS2_EEb.num_agpr, 0
	.set _ZN9rocsparseL23csr2csr_compress_kernelILi1024ELi16ELi64ELi64EfEEvii21rocsparse_index_base_PKT3_PKiS6_iS1_PS2_S6_PiNS_24const_host_device_scalarIS2_EEb.numbered_sgpr, 13
	.set _ZN9rocsparseL23csr2csr_compress_kernelILi1024ELi16ELi64ELi64EfEEvii21rocsparse_index_base_PKT3_PKiS6_iS1_PS2_S6_PiNS_24const_host_device_scalarIS2_EEb.num_named_barrier, 0
	.set _ZN9rocsparseL23csr2csr_compress_kernelILi1024ELi16ELi64ELi64EfEEvii21rocsparse_index_base_PKT3_PKiS6_iS1_PS2_S6_PiNS_24const_host_device_scalarIS2_EEb.private_seg_size, 0
	.set _ZN9rocsparseL23csr2csr_compress_kernelILi1024ELi16ELi64ELi64EfEEvii21rocsparse_index_base_PKT3_PKiS6_iS1_PS2_S6_PiNS_24const_host_device_scalarIS2_EEb.uses_vcc, 1
	.set _ZN9rocsparseL23csr2csr_compress_kernelILi1024ELi16ELi64ELi64EfEEvii21rocsparse_index_base_PKT3_PKiS6_iS1_PS2_S6_PiNS_24const_host_device_scalarIS2_EEb.uses_flat_scratch, 0
	.set _ZN9rocsparseL23csr2csr_compress_kernelILi1024ELi16ELi64ELi64EfEEvii21rocsparse_index_base_PKT3_PKiS6_iS1_PS2_S6_PiNS_24const_host_device_scalarIS2_EEb.has_dyn_sized_stack, 0
	.set _ZN9rocsparseL23csr2csr_compress_kernelILi1024ELi16ELi64ELi64EfEEvii21rocsparse_index_base_PKT3_PKiS6_iS1_PS2_S6_PiNS_24const_host_device_scalarIS2_EEb.has_recursion, 0
	.set _ZN9rocsparseL23csr2csr_compress_kernelILi1024ELi16ELi64ELi64EfEEvii21rocsparse_index_base_PKT3_PKiS6_iS1_PS2_S6_PiNS_24const_host_device_scalarIS2_EEb.has_indirect_call, 0
	.section	.AMDGPU.csdata,"",@progbits
; Kernel info:
; codeLenInByte = 580
; TotalNumSgprs: 15
; NumVgprs: 14
; ScratchSize: 0
; MemoryBound: 0
; FloatMode: 240
; IeeeMode: 1
; LDSByteSize: 0 bytes/workgroup (compile time only)
; SGPRBlocks: 0
; VGPRBlocks: 0
; NumSGPRsForWavesPerEU: 15
; NumVGPRsForWavesPerEU: 14
; NamedBarCnt: 0
; Occupancy: 16
; WaveLimiterHint : 0
; COMPUTE_PGM_RSRC2:SCRATCH_EN: 0
; COMPUTE_PGM_RSRC2:USER_SGPR: 2
; COMPUTE_PGM_RSRC2:TRAP_HANDLER: 0
; COMPUTE_PGM_RSRC2:TGID_X_EN: 1
; COMPUTE_PGM_RSRC2:TGID_Y_EN: 0
; COMPUTE_PGM_RSRC2:TGID_Z_EN: 0
; COMPUTE_PGM_RSRC2:TIDIG_COMP_CNT: 0
	.section	.text._ZN9rocsparseL23csr2csr_compress_kernelILi1024ELi512ELi2ELi32EdEEvii21rocsparse_index_base_PKT3_PKiS6_iS1_PS2_S6_PiNS_24const_host_device_scalarIS2_EEb,"axG",@progbits,_ZN9rocsparseL23csr2csr_compress_kernelILi1024ELi512ELi2ELi32EdEEvii21rocsparse_index_base_PKT3_PKiS6_iS1_PS2_S6_PiNS_24const_host_device_scalarIS2_EEb,comdat
	.globl	_ZN9rocsparseL23csr2csr_compress_kernelILi1024ELi512ELi2ELi32EdEEvii21rocsparse_index_base_PKT3_PKiS6_iS1_PS2_S6_PiNS_24const_host_device_scalarIS2_EEb ; -- Begin function _ZN9rocsparseL23csr2csr_compress_kernelILi1024ELi512ELi2ELi32EdEEvii21rocsparse_index_base_PKT3_PKiS6_iS1_PS2_S6_PiNS_24const_host_device_scalarIS2_EEb
	.p2align	8
	.type	_ZN9rocsparseL23csr2csr_compress_kernelILi1024ELi512ELi2ELi32EdEEvii21rocsparse_index_base_PKT3_PKiS6_iS1_PS2_S6_PiNS_24const_host_device_scalarIS2_EEb,@function
_ZN9rocsparseL23csr2csr_compress_kernelILi1024ELi512ELi2ELi32EdEEvii21rocsparse_index_base_PKT3_PKiS6_iS1_PS2_S6_PiNS_24const_host_device_scalarIS2_EEb: ; @_ZN9rocsparseL23csr2csr_compress_kernelILi1024ELi512ELi2ELi32EdEEvii21rocsparse_index_base_PKT3_PKiS6_iS1_PS2_S6_PiNS_24const_host_device_scalarIS2_EEb
; %bb.0:
	s_load_b96 s[4:6], s[0:1], 0x48
	s_wait_kmcnt 0x0
	v_mov_b64_e32 v[2:3], s[4:5]
	s_bitcmp1_b32 s6, 0
	s_cselect_b32 s2, -1, 0
	s_delay_alu instid0(SALU_CYCLE_1)
	s_and_b32 vcc_lo, exec_lo, s2
	s_cbranch_vccnz .LBB11_2
; %bb.1:
	v_mov_b32_e32 v1, 0
	flat_load_b64 v[2:3], v1, s[4:5]
.LBB11_2:
	s_load_b32 s2, s[0:1], 0x0
	s_bfe_u32 s3, ttmp6, 0x4000c
	s_and_b32 s4, ttmp6, 15
	s_add_co_i32 s3, s3, 1
	s_getreg_b32 s5, hwreg(HW_REG_IB_STS2, 6, 4)
	s_mul_i32 s3, ttmp9, s3
	v_lshrrev_b32_e32 v1, 1, v0
	s_add_co_i32 s4, s4, s3
	s_cmp_eq_u32 s5, 0
	s_cselect_b32 s3, ttmp9, s4
	s_delay_alu instid0(VALU_DEP_1) | instid1(SALU_CYCLE_1)
	v_lshl_or_b32 v6, s3, 9, v1
	s_wait_kmcnt 0x0
	s_delay_alu instid0(VALU_DEP_1)
	v_cmp_gt_i32_e32 vcc_lo, s2, v6
	s_and_saveexec_b32 s2, vcc_lo
	s_cbranch_execz .LBB11_8
; %bb.3:
	s_clause 0x1
	s_load_b64 s[2:3], s[0:1], 0x18
	s_load_b32 s10, s[0:1], 0x8
	v_dual_ashrrev_i32 v7, 31, v6 :: v_dual_bitop2_b32 v1, 1, v0 bitop3:0x40
	s_wait_kmcnt 0x0
	s_delay_alu instid0(VALU_DEP_1) | instskip(NEXT) | instid1(VALU_DEP_2)
	v_lshl_add_u64 v[4:5], v[6:7], 2, s[2:3]
	v_subrev_nc_u32_e32 v8, s10, v1
	global_load_b64 v[4:5], v[4:5], off
	s_wait_loadcnt 0x0
	v_subrev_nc_u32_e32 v12, s10, v5
	v_add_nc_u32_e32 v4, v4, v8
	s_delay_alu instid0(VALU_DEP_1)
	v_cmp_lt_i32_e32 vcc_lo, v4, v12
	s_and_b32 exec_lo, exec_lo, vcc_lo
	s_cbranch_execz .LBB11_8
; %bb.4:
	s_clause 0x1
	s_load_b128 s[4:7], s[0:1], 0x30
	s_load_b64 s[2:3], s[0:1], 0x40
	v_mbcnt_lo_u32_b32 v9, -1, 0
	s_wait_kmcnt 0x0
	v_lshl_add_u64 v[6:7], v[6:7], 2, s[6:7]
	global_load_b32 v5, v[6:7], off
	s_clause 0x2
	s_load_b32 s11, s[0:1], 0x2c
	s_load_b64 s[6:7], s[0:1], 0x10
	s_load_b64 s[8:9], s[0:1], 0x20
	v_not_b32_e32 v6, v1
	v_dual_mov_b32 v1, 0 :: v_dual_bitop2_b32 v7, 30, v0 bitop3:0x40
	s_wait_xcnt 0x0
	s_mov_b32 s1, 0
	s_delay_alu instid0(VALU_DEP_2) | instskip(NEXT) | instid1(VALU_DEP_1)
	v_lshrrev_b32_e64 v0, v6, -1
	v_lshlrev_b64_e32 v[6:7], v7, v[0:1]
	v_lshl_or_b32 v7, v9, 2, 4
	s_wait_kmcnt 0x0
	s_sub_co_i32 s10, s11, s10
	s_wait_loadcnt 0x0
	v_subrev_nc_u32_e32 v8, s11, v5
	s_branch .LBB11_6
.LBB11_5:                               ;   in Loop: Header=BB11_6 Depth=1
	s_wait_xcnt 0x0
	s_or_b32 exec_lo, exec_lo, s0
	ds_bpermute_b32 v0, v7, v0
	v_add_nc_u32_e32 v4, 2, v4
	s_delay_alu instid0(VALU_DEP_1)
	v_cmp_ge_i32_e32 vcc_lo, v4, v12
	s_or_b32 s1, vcc_lo, s1
	s_wait_dscnt 0x0
	v_add_nc_u32_e32 v8, v0, v8
	s_and_not1_b32 exec_lo, exec_lo, s1
	s_cbranch_execz .LBB11_8
.LBB11_6:                               ; =>This Inner Loop Header: Depth=1
	global_load_b64 v[10:11], v4, s[6:7] scale_offset
	v_ashrrev_i32_e32 v5, 31, v4
	s_wait_loadcnt 0x0
	v_cmp_gt_f64_e32 vcc_lo, 0, v[10:11]
	v_xor_b32_e32 v0, 0x80000000, v11
	s_delay_alu instid0(VALU_DEP_1) | instskip(SKIP_1) | instid1(VALU_DEP_1)
	v_dual_mov_b32 v14, v10 :: v_dual_cndmask_b32 v15, v11, v0
	s_wait_dscnt 0x0
	v_cmp_gt_f64_e32 vcc_lo, v[14:15], v[2:3]
	v_cmp_lt_f64_e64 s0, 0x38100000, v[14:15]
	s_and_b32 s11, vcc_lo, s0
	s_delay_alu instid0(SALU_CYCLE_1) | instskip(NEXT) | instid1(VALU_DEP_1)
	v_cndmask_b32_e64 v0, 0, 1, s11
	v_cmp_ne_u32_e32 vcc_lo, 0, v0
	v_and_b32_e32 v0, vcc_lo, v6
	s_delay_alu instid0(VALU_DEP_1)
	v_bcnt_u32_b32 v0, v0, 0
	s_wait_xcnt 0x0
	s_and_saveexec_b32 s0, s11
	s_cbranch_execz .LBB11_5
; %bb.7:                                ;   in Loop: Header=BB11_6 Depth=1
	v_lshl_add_u64 v[14:15], v[4:5], 2, s[8:9]
	global_load_b32 v5, v[14:15], off
	s_wait_loadcnt 0x0
	v_dual_ashrrev_i32 v9, 31, v8 :: v_dual_add_nc_u32 v5, s10, v5
	s_wait_xcnt 0x0
	s_delay_alu instid0(VALU_DEP_1) | instskip(NEXT) | instid1(VALU_DEP_1)
	v_add_nc_u64_e32 v[14:15], v[8:9], v[0:1]
	v_lshl_add_u64 v[16:17], v[14:15], 3, s[4:5]
	v_lshl_add_u64 v[14:15], v[14:15], 2, s[2:3]
	global_store_b64 v[16:17], v[10:11], off offset:-8
	global_store_b32 v[14:15], v5, off offset:-4
	s_branch .LBB11_5
.LBB11_8:
	s_endpgm
	.section	.rodata,"a",@progbits
	.p2align	6, 0x0
	.amdhsa_kernel _ZN9rocsparseL23csr2csr_compress_kernelILi1024ELi512ELi2ELi32EdEEvii21rocsparse_index_base_PKT3_PKiS6_iS1_PS2_S6_PiNS_24const_host_device_scalarIS2_EEb
		.amdhsa_group_segment_fixed_size 0
		.amdhsa_private_segment_fixed_size 0
		.amdhsa_kernarg_size 84
		.amdhsa_user_sgpr_count 2
		.amdhsa_user_sgpr_dispatch_ptr 0
		.amdhsa_user_sgpr_queue_ptr 0
		.amdhsa_user_sgpr_kernarg_segment_ptr 1
		.amdhsa_user_sgpr_dispatch_id 0
		.amdhsa_user_sgpr_kernarg_preload_length 0
		.amdhsa_user_sgpr_kernarg_preload_offset 0
		.amdhsa_user_sgpr_private_segment_size 0
		.amdhsa_wavefront_size32 1
		.amdhsa_uses_dynamic_stack 0
		.amdhsa_enable_private_segment 0
		.amdhsa_system_sgpr_workgroup_id_x 1
		.amdhsa_system_sgpr_workgroup_id_y 0
		.amdhsa_system_sgpr_workgroup_id_z 0
		.amdhsa_system_sgpr_workgroup_info 0
		.amdhsa_system_vgpr_workitem_id 0
		.amdhsa_next_free_vgpr 18
		.amdhsa_next_free_sgpr 12
		.amdhsa_named_barrier_count 0
		.amdhsa_reserve_vcc 1
		.amdhsa_float_round_mode_32 0
		.amdhsa_float_round_mode_16_64 0
		.amdhsa_float_denorm_mode_32 3
		.amdhsa_float_denorm_mode_16_64 3
		.amdhsa_fp16_overflow 0
		.amdhsa_memory_ordered 1
		.amdhsa_forward_progress 1
		.amdhsa_inst_pref_size 5
		.amdhsa_round_robin_scheduling 0
		.amdhsa_exception_fp_ieee_invalid_op 0
		.amdhsa_exception_fp_denorm_src 0
		.amdhsa_exception_fp_ieee_div_zero 0
		.amdhsa_exception_fp_ieee_overflow 0
		.amdhsa_exception_fp_ieee_underflow 0
		.amdhsa_exception_fp_ieee_inexact 0
		.amdhsa_exception_int_div_zero 0
	.end_amdhsa_kernel
	.section	.text._ZN9rocsparseL23csr2csr_compress_kernelILi1024ELi512ELi2ELi32EdEEvii21rocsparse_index_base_PKT3_PKiS6_iS1_PS2_S6_PiNS_24const_host_device_scalarIS2_EEb,"axG",@progbits,_ZN9rocsparseL23csr2csr_compress_kernelILi1024ELi512ELi2ELi32EdEEvii21rocsparse_index_base_PKT3_PKiS6_iS1_PS2_S6_PiNS_24const_host_device_scalarIS2_EEb,comdat
.Lfunc_end11:
	.size	_ZN9rocsparseL23csr2csr_compress_kernelILi1024ELi512ELi2ELi32EdEEvii21rocsparse_index_base_PKT3_PKiS6_iS1_PS2_S6_PiNS_24const_host_device_scalarIS2_EEb, .Lfunc_end11-_ZN9rocsparseL23csr2csr_compress_kernelILi1024ELi512ELi2ELi32EdEEvii21rocsparse_index_base_PKT3_PKiS6_iS1_PS2_S6_PiNS_24const_host_device_scalarIS2_EEb
                                        ; -- End function
	.set _ZN9rocsparseL23csr2csr_compress_kernelILi1024ELi512ELi2ELi32EdEEvii21rocsparse_index_base_PKT3_PKiS6_iS1_PS2_S6_PiNS_24const_host_device_scalarIS2_EEb.num_vgpr, 18
	.set _ZN9rocsparseL23csr2csr_compress_kernelILi1024ELi512ELi2ELi32EdEEvii21rocsparse_index_base_PKT3_PKiS6_iS1_PS2_S6_PiNS_24const_host_device_scalarIS2_EEb.num_agpr, 0
	.set _ZN9rocsparseL23csr2csr_compress_kernelILi1024ELi512ELi2ELi32EdEEvii21rocsparse_index_base_PKT3_PKiS6_iS1_PS2_S6_PiNS_24const_host_device_scalarIS2_EEb.numbered_sgpr, 12
	.set _ZN9rocsparseL23csr2csr_compress_kernelILi1024ELi512ELi2ELi32EdEEvii21rocsparse_index_base_PKT3_PKiS6_iS1_PS2_S6_PiNS_24const_host_device_scalarIS2_EEb.num_named_barrier, 0
	.set _ZN9rocsparseL23csr2csr_compress_kernelILi1024ELi512ELi2ELi32EdEEvii21rocsparse_index_base_PKT3_PKiS6_iS1_PS2_S6_PiNS_24const_host_device_scalarIS2_EEb.private_seg_size, 0
	.set _ZN9rocsparseL23csr2csr_compress_kernelILi1024ELi512ELi2ELi32EdEEvii21rocsparse_index_base_PKT3_PKiS6_iS1_PS2_S6_PiNS_24const_host_device_scalarIS2_EEb.uses_vcc, 1
	.set _ZN9rocsparseL23csr2csr_compress_kernelILi1024ELi512ELi2ELi32EdEEvii21rocsparse_index_base_PKT3_PKiS6_iS1_PS2_S6_PiNS_24const_host_device_scalarIS2_EEb.uses_flat_scratch, 0
	.set _ZN9rocsparseL23csr2csr_compress_kernelILi1024ELi512ELi2ELi32EdEEvii21rocsparse_index_base_PKT3_PKiS6_iS1_PS2_S6_PiNS_24const_host_device_scalarIS2_EEb.has_dyn_sized_stack, 0
	.set _ZN9rocsparseL23csr2csr_compress_kernelILi1024ELi512ELi2ELi32EdEEvii21rocsparse_index_base_PKT3_PKiS6_iS1_PS2_S6_PiNS_24const_host_device_scalarIS2_EEb.has_recursion, 0
	.set _ZN9rocsparseL23csr2csr_compress_kernelILi1024ELi512ELi2ELi32EdEEvii21rocsparse_index_base_PKT3_PKiS6_iS1_PS2_S6_PiNS_24const_host_device_scalarIS2_EEb.has_indirect_call, 0
	.section	.AMDGPU.csdata,"",@progbits
; Kernel info:
; codeLenInByte = 628
; TotalNumSgprs: 14
; NumVgprs: 18
; ScratchSize: 0
; MemoryBound: 0
; FloatMode: 240
; IeeeMode: 1
; LDSByteSize: 0 bytes/workgroup (compile time only)
; SGPRBlocks: 0
; VGPRBlocks: 1
; NumSGPRsForWavesPerEU: 14
; NumVGPRsForWavesPerEU: 18
; NamedBarCnt: 0
; Occupancy: 16
; WaveLimiterHint : 0
; COMPUTE_PGM_RSRC2:SCRATCH_EN: 0
; COMPUTE_PGM_RSRC2:USER_SGPR: 2
; COMPUTE_PGM_RSRC2:TRAP_HANDLER: 0
; COMPUTE_PGM_RSRC2:TGID_X_EN: 1
; COMPUTE_PGM_RSRC2:TGID_Y_EN: 0
; COMPUTE_PGM_RSRC2:TGID_Z_EN: 0
; COMPUTE_PGM_RSRC2:TIDIG_COMP_CNT: 0
	.section	.text._ZN9rocsparseL23csr2csr_compress_kernelILi1024ELi256ELi4ELi32EdEEvii21rocsparse_index_base_PKT3_PKiS6_iS1_PS2_S6_PiNS_24const_host_device_scalarIS2_EEb,"axG",@progbits,_ZN9rocsparseL23csr2csr_compress_kernelILi1024ELi256ELi4ELi32EdEEvii21rocsparse_index_base_PKT3_PKiS6_iS1_PS2_S6_PiNS_24const_host_device_scalarIS2_EEb,comdat
	.globl	_ZN9rocsparseL23csr2csr_compress_kernelILi1024ELi256ELi4ELi32EdEEvii21rocsparse_index_base_PKT3_PKiS6_iS1_PS2_S6_PiNS_24const_host_device_scalarIS2_EEb ; -- Begin function _ZN9rocsparseL23csr2csr_compress_kernelILi1024ELi256ELi4ELi32EdEEvii21rocsparse_index_base_PKT3_PKiS6_iS1_PS2_S6_PiNS_24const_host_device_scalarIS2_EEb
	.p2align	8
	.type	_ZN9rocsparseL23csr2csr_compress_kernelILi1024ELi256ELi4ELi32EdEEvii21rocsparse_index_base_PKT3_PKiS6_iS1_PS2_S6_PiNS_24const_host_device_scalarIS2_EEb,@function
_ZN9rocsparseL23csr2csr_compress_kernelILi1024ELi256ELi4ELi32EdEEvii21rocsparse_index_base_PKT3_PKiS6_iS1_PS2_S6_PiNS_24const_host_device_scalarIS2_EEb: ; @_ZN9rocsparseL23csr2csr_compress_kernelILi1024ELi256ELi4ELi32EdEEvii21rocsparse_index_base_PKT3_PKiS6_iS1_PS2_S6_PiNS_24const_host_device_scalarIS2_EEb
; %bb.0:
	s_load_b96 s[4:6], s[0:1], 0x48
	s_wait_kmcnt 0x0
	v_mov_b64_e32 v[2:3], s[4:5]
	s_bitcmp1_b32 s6, 0
	s_cselect_b32 s2, -1, 0
	s_delay_alu instid0(SALU_CYCLE_1)
	s_and_b32 vcc_lo, exec_lo, s2
	s_cbranch_vccnz .LBB12_2
; %bb.1:
	v_mov_b32_e32 v1, 0
	flat_load_b64 v[2:3], v1, s[4:5]
.LBB12_2:
	s_load_b32 s2, s[0:1], 0x0
	s_bfe_u32 s3, ttmp6, 0x4000c
	s_and_b32 s4, ttmp6, 15
	s_add_co_i32 s3, s3, 1
	s_getreg_b32 s5, hwreg(HW_REG_IB_STS2, 6, 4)
	s_mul_i32 s3, ttmp9, s3
	v_lshrrev_b32_e32 v1, 2, v0
	s_add_co_i32 s4, s4, s3
	s_cmp_eq_u32 s5, 0
	s_cselect_b32 s3, ttmp9, s4
	s_delay_alu instid0(VALU_DEP_1) | instid1(SALU_CYCLE_1)
	v_lshl_or_b32 v6, s3, 8, v1
	s_wait_kmcnt 0x0
	s_delay_alu instid0(VALU_DEP_1)
	v_cmp_gt_i32_e32 vcc_lo, s2, v6
	s_and_saveexec_b32 s2, vcc_lo
	s_cbranch_execz .LBB12_8
; %bb.3:
	s_clause 0x1
	s_load_b64 s[2:3], s[0:1], 0x18
	s_load_b32 s10, s[0:1], 0x8
	v_dual_ashrrev_i32 v7, 31, v6 :: v_dual_bitop2_b32 v1, 3, v0 bitop3:0x40
	s_wait_kmcnt 0x0
	s_delay_alu instid0(VALU_DEP_1) | instskip(NEXT) | instid1(VALU_DEP_2)
	v_lshl_add_u64 v[4:5], v[6:7], 2, s[2:3]
	v_subrev_nc_u32_e32 v8, s10, v1
	global_load_b64 v[4:5], v[4:5], off
	s_wait_loadcnt 0x0
	v_subrev_nc_u32_e32 v12, s10, v5
	v_add_nc_u32_e32 v4, v4, v8
	s_delay_alu instid0(VALU_DEP_1)
	v_cmp_lt_i32_e32 vcc_lo, v4, v12
	s_and_b32 exec_lo, exec_lo, vcc_lo
	s_cbranch_execz .LBB12_8
; %bb.4:
	s_clause 0x1
	s_load_b128 s[4:7], s[0:1], 0x30
	s_load_b64 s[2:3], s[0:1], 0x40
	v_mbcnt_lo_u32_b32 v9, -1, 0
	s_wait_kmcnt 0x0
	v_lshl_add_u64 v[6:7], v[6:7], 2, s[6:7]
	global_load_b32 v5, v[6:7], off
	s_clause 0x2
	s_load_b32 s11, s[0:1], 0x2c
	s_load_b64 s[6:7], s[0:1], 0x10
	s_load_b64 s[8:9], s[0:1], 0x20
	v_not_b32_e32 v6, v1
	v_dual_mov_b32 v1, 0 :: v_dual_bitop2_b32 v7, 28, v0 bitop3:0x40
	s_wait_xcnt 0x0
	s_mov_b32 s1, 0
	s_delay_alu instid0(VALU_DEP_2) | instskip(NEXT) | instid1(VALU_DEP_1)
	v_lshrrev_b32_e64 v0, v6, -1
	v_lshlrev_b64_e32 v[6:7], v7, v[0:1]
	v_lshl_or_b32 v7, v9, 2, 12
	s_wait_kmcnt 0x0
	s_sub_co_i32 s10, s11, s10
	s_wait_loadcnt 0x0
	v_subrev_nc_u32_e32 v8, s11, v5
	s_branch .LBB12_6
.LBB12_5:                               ;   in Loop: Header=BB12_6 Depth=1
	s_wait_xcnt 0x0
	s_or_b32 exec_lo, exec_lo, s0
	ds_bpermute_b32 v0, v7, v0
	v_add_nc_u32_e32 v4, 4, v4
	s_delay_alu instid0(VALU_DEP_1)
	v_cmp_ge_i32_e32 vcc_lo, v4, v12
	s_or_b32 s1, vcc_lo, s1
	s_wait_dscnt 0x0
	v_add_nc_u32_e32 v8, v0, v8
	s_and_not1_b32 exec_lo, exec_lo, s1
	s_cbranch_execz .LBB12_8
.LBB12_6:                               ; =>This Inner Loop Header: Depth=1
	global_load_b64 v[10:11], v4, s[6:7] scale_offset
	v_ashrrev_i32_e32 v5, 31, v4
	s_wait_loadcnt 0x0
	v_cmp_gt_f64_e32 vcc_lo, 0, v[10:11]
	v_xor_b32_e32 v0, 0x80000000, v11
	s_delay_alu instid0(VALU_DEP_1) | instskip(SKIP_1) | instid1(VALU_DEP_1)
	v_dual_mov_b32 v14, v10 :: v_dual_cndmask_b32 v15, v11, v0
	s_wait_dscnt 0x0
	v_cmp_gt_f64_e32 vcc_lo, v[14:15], v[2:3]
	v_cmp_lt_f64_e64 s0, 0x38100000, v[14:15]
	s_and_b32 s11, vcc_lo, s0
	s_delay_alu instid0(SALU_CYCLE_1) | instskip(NEXT) | instid1(VALU_DEP_1)
	v_cndmask_b32_e64 v0, 0, 1, s11
	v_cmp_ne_u32_e32 vcc_lo, 0, v0
	v_and_b32_e32 v0, vcc_lo, v6
	s_delay_alu instid0(VALU_DEP_1)
	v_bcnt_u32_b32 v0, v0, 0
	s_wait_xcnt 0x0
	s_and_saveexec_b32 s0, s11
	s_cbranch_execz .LBB12_5
; %bb.7:                                ;   in Loop: Header=BB12_6 Depth=1
	v_lshl_add_u64 v[14:15], v[4:5], 2, s[8:9]
	global_load_b32 v5, v[14:15], off
	s_wait_loadcnt 0x0
	v_dual_ashrrev_i32 v9, 31, v8 :: v_dual_add_nc_u32 v5, s10, v5
	s_wait_xcnt 0x0
	s_delay_alu instid0(VALU_DEP_1) | instskip(NEXT) | instid1(VALU_DEP_1)
	v_add_nc_u64_e32 v[14:15], v[8:9], v[0:1]
	v_lshl_add_u64 v[16:17], v[14:15], 3, s[4:5]
	v_lshl_add_u64 v[14:15], v[14:15], 2, s[2:3]
	global_store_b64 v[16:17], v[10:11], off offset:-8
	global_store_b32 v[14:15], v5, off offset:-4
	s_branch .LBB12_5
.LBB12_8:
	s_endpgm
	.section	.rodata,"a",@progbits
	.p2align	6, 0x0
	.amdhsa_kernel _ZN9rocsparseL23csr2csr_compress_kernelILi1024ELi256ELi4ELi32EdEEvii21rocsparse_index_base_PKT3_PKiS6_iS1_PS2_S6_PiNS_24const_host_device_scalarIS2_EEb
		.amdhsa_group_segment_fixed_size 0
		.amdhsa_private_segment_fixed_size 0
		.amdhsa_kernarg_size 84
		.amdhsa_user_sgpr_count 2
		.amdhsa_user_sgpr_dispatch_ptr 0
		.amdhsa_user_sgpr_queue_ptr 0
		.amdhsa_user_sgpr_kernarg_segment_ptr 1
		.amdhsa_user_sgpr_dispatch_id 0
		.amdhsa_user_sgpr_kernarg_preload_length 0
		.amdhsa_user_sgpr_kernarg_preload_offset 0
		.amdhsa_user_sgpr_private_segment_size 0
		.amdhsa_wavefront_size32 1
		.amdhsa_uses_dynamic_stack 0
		.amdhsa_enable_private_segment 0
		.amdhsa_system_sgpr_workgroup_id_x 1
		.amdhsa_system_sgpr_workgroup_id_y 0
		.amdhsa_system_sgpr_workgroup_id_z 0
		.amdhsa_system_sgpr_workgroup_info 0
		.amdhsa_system_vgpr_workitem_id 0
		.amdhsa_next_free_vgpr 18
		.amdhsa_next_free_sgpr 12
		.amdhsa_named_barrier_count 0
		.amdhsa_reserve_vcc 1
		.amdhsa_float_round_mode_32 0
		.amdhsa_float_round_mode_16_64 0
		.amdhsa_float_denorm_mode_32 3
		.amdhsa_float_denorm_mode_16_64 3
		.amdhsa_fp16_overflow 0
		.amdhsa_memory_ordered 1
		.amdhsa_forward_progress 1
		.amdhsa_inst_pref_size 5
		.amdhsa_round_robin_scheduling 0
		.amdhsa_exception_fp_ieee_invalid_op 0
		.amdhsa_exception_fp_denorm_src 0
		.amdhsa_exception_fp_ieee_div_zero 0
		.amdhsa_exception_fp_ieee_overflow 0
		.amdhsa_exception_fp_ieee_underflow 0
		.amdhsa_exception_fp_ieee_inexact 0
		.amdhsa_exception_int_div_zero 0
	.end_amdhsa_kernel
	.section	.text._ZN9rocsparseL23csr2csr_compress_kernelILi1024ELi256ELi4ELi32EdEEvii21rocsparse_index_base_PKT3_PKiS6_iS1_PS2_S6_PiNS_24const_host_device_scalarIS2_EEb,"axG",@progbits,_ZN9rocsparseL23csr2csr_compress_kernelILi1024ELi256ELi4ELi32EdEEvii21rocsparse_index_base_PKT3_PKiS6_iS1_PS2_S6_PiNS_24const_host_device_scalarIS2_EEb,comdat
.Lfunc_end12:
	.size	_ZN9rocsparseL23csr2csr_compress_kernelILi1024ELi256ELi4ELi32EdEEvii21rocsparse_index_base_PKT3_PKiS6_iS1_PS2_S6_PiNS_24const_host_device_scalarIS2_EEb, .Lfunc_end12-_ZN9rocsparseL23csr2csr_compress_kernelILi1024ELi256ELi4ELi32EdEEvii21rocsparse_index_base_PKT3_PKiS6_iS1_PS2_S6_PiNS_24const_host_device_scalarIS2_EEb
                                        ; -- End function
	.set _ZN9rocsparseL23csr2csr_compress_kernelILi1024ELi256ELi4ELi32EdEEvii21rocsparse_index_base_PKT3_PKiS6_iS1_PS2_S6_PiNS_24const_host_device_scalarIS2_EEb.num_vgpr, 18
	.set _ZN9rocsparseL23csr2csr_compress_kernelILi1024ELi256ELi4ELi32EdEEvii21rocsparse_index_base_PKT3_PKiS6_iS1_PS2_S6_PiNS_24const_host_device_scalarIS2_EEb.num_agpr, 0
	.set _ZN9rocsparseL23csr2csr_compress_kernelILi1024ELi256ELi4ELi32EdEEvii21rocsparse_index_base_PKT3_PKiS6_iS1_PS2_S6_PiNS_24const_host_device_scalarIS2_EEb.numbered_sgpr, 12
	.set _ZN9rocsparseL23csr2csr_compress_kernelILi1024ELi256ELi4ELi32EdEEvii21rocsparse_index_base_PKT3_PKiS6_iS1_PS2_S6_PiNS_24const_host_device_scalarIS2_EEb.num_named_barrier, 0
	.set _ZN9rocsparseL23csr2csr_compress_kernelILi1024ELi256ELi4ELi32EdEEvii21rocsparse_index_base_PKT3_PKiS6_iS1_PS2_S6_PiNS_24const_host_device_scalarIS2_EEb.private_seg_size, 0
	.set _ZN9rocsparseL23csr2csr_compress_kernelILi1024ELi256ELi4ELi32EdEEvii21rocsparse_index_base_PKT3_PKiS6_iS1_PS2_S6_PiNS_24const_host_device_scalarIS2_EEb.uses_vcc, 1
	.set _ZN9rocsparseL23csr2csr_compress_kernelILi1024ELi256ELi4ELi32EdEEvii21rocsparse_index_base_PKT3_PKiS6_iS1_PS2_S6_PiNS_24const_host_device_scalarIS2_EEb.uses_flat_scratch, 0
	.set _ZN9rocsparseL23csr2csr_compress_kernelILi1024ELi256ELi4ELi32EdEEvii21rocsparse_index_base_PKT3_PKiS6_iS1_PS2_S6_PiNS_24const_host_device_scalarIS2_EEb.has_dyn_sized_stack, 0
	.set _ZN9rocsparseL23csr2csr_compress_kernelILi1024ELi256ELi4ELi32EdEEvii21rocsparse_index_base_PKT3_PKiS6_iS1_PS2_S6_PiNS_24const_host_device_scalarIS2_EEb.has_recursion, 0
	.set _ZN9rocsparseL23csr2csr_compress_kernelILi1024ELi256ELi4ELi32EdEEvii21rocsparse_index_base_PKT3_PKiS6_iS1_PS2_S6_PiNS_24const_host_device_scalarIS2_EEb.has_indirect_call, 0
	.section	.AMDGPU.csdata,"",@progbits
; Kernel info:
; codeLenInByte = 628
; TotalNumSgprs: 14
; NumVgprs: 18
; ScratchSize: 0
; MemoryBound: 0
; FloatMode: 240
; IeeeMode: 1
; LDSByteSize: 0 bytes/workgroup (compile time only)
; SGPRBlocks: 0
; VGPRBlocks: 1
; NumSGPRsForWavesPerEU: 14
; NumVGPRsForWavesPerEU: 18
; NamedBarCnt: 0
; Occupancy: 16
; WaveLimiterHint : 0
; COMPUTE_PGM_RSRC2:SCRATCH_EN: 0
; COMPUTE_PGM_RSRC2:USER_SGPR: 2
; COMPUTE_PGM_RSRC2:TRAP_HANDLER: 0
; COMPUTE_PGM_RSRC2:TGID_X_EN: 1
; COMPUTE_PGM_RSRC2:TGID_Y_EN: 0
; COMPUTE_PGM_RSRC2:TGID_Z_EN: 0
; COMPUTE_PGM_RSRC2:TIDIG_COMP_CNT: 0
	.section	.text._ZN9rocsparseL23csr2csr_compress_kernelILi1024ELi128ELi8ELi32EdEEvii21rocsparse_index_base_PKT3_PKiS6_iS1_PS2_S6_PiNS_24const_host_device_scalarIS2_EEb,"axG",@progbits,_ZN9rocsparseL23csr2csr_compress_kernelILi1024ELi128ELi8ELi32EdEEvii21rocsparse_index_base_PKT3_PKiS6_iS1_PS2_S6_PiNS_24const_host_device_scalarIS2_EEb,comdat
	.globl	_ZN9rocsparseL23csr2csr_compress_kernelILi1024ELi128ELi8ELi32EdEEvii21rocsparse_index_base_PKT3_PKiS6_iS1_PS2_S6_PiNS_24const_host_device_scalarIS2_EEb ; -- Begin function _ZN9rocsparseL23csr2csr_compress_kernelILi1024ELi128ELi8ELi32EdEEvii21rocsparse_index_base_PKT3_PKiS6_iS1_PS2_S6_PiNS_24const_host_device_scalarIS2_EEb
	.p2align	8
	.type	_ZN9rocsparseL23csr2csr_compress_kernelILi1024ELi128ELi8ELi32EdEEvii21rocsparse_index_base_PKT3_PKiS6_iS1_PS2_S6_PiNS_24const_host_device_scalarIS2_EEb,@function
_ZN9rocsparseL23csr2csr_compress_kernelILi1024ELi128ELi8ELi32EdEEvii21rocsparse_index_base_PKT3_PKiS6_iS1_PS2_S6_PiNS_24const_host_device_scalarIS2_EEb: ; @_ZN9rocsparseL23csr2csr_compress_kernelILi1024ELi128ELi8ELi32EdEEvii21rocsparse_index_base_PKT3_PKiS6_iS1_PS2_S6_PiNS_24const_host_device_scalarIS2_EEb
; %bb.0:
	s_load_b96 s[4:6], s[0:1], 0x48
	s_wait_kmcnt 0x0
	v_mov_b64_e32 v[2:3], s[4:5]
	s_bitcmp1_b32 s6, 0
	s_cselect_b32 s2, -1, 0
	s_delay_alu instid0(SALU_CYCLE_1)
	s_and_b32 vcc_lo, exec_lo, s2
	s_cbranch_vccnz .LBB13_2
; %bb.1:
	v_mov_b32_e32 v1, 0
	flat_load_b64 v[2:3], v1, s[4:5]
.LBB13_2:
	s_load_b32 s2, s[0:1], 0x0
	s_bfe_u32 s3, ttmp6, 0x4000c
	s_and_b32 s4, ttmp6, 15
	s_add_co_i32 s3, s3, 1
	s_getreg_b32 s5, hwreg(HW_REG_IB_STS2, 6, 4)
	s_mul_i32 s3, ttmp9, s3
	v_lshrrev_b32_e32 v1, 3, v0
	s_add_co_i32 s4, s4, s3
	s_cmp_eq_u32 s5, 0
	s_cselect_b32 s3, ttmp9, s4
	s_delay_alu instid0(VALU_DEP_1) | instid1(SALU_CYCLE_1)
	v_lshl_or_b32 v6, s3, 7, v1
	s_wait_kmcnt 0x0
	s_delay_alu instid0(VALU_DEP_1)
	v_cmp_gt_i32_e32 vcc_lo, s2, v6
	s_and_saveexec_b32 s2, vcc_lo
	s_cbranch_execz .LBB13_8
; %bb.3:
	s_clause 0x1
	s_load_b64 s[2:3], s[0:1], 0x18
	s_load_b32 s10, s[0:1], 0x8
	v_dual_ashrrev_i32 v7, 31, v6 :: v_dual_bitop2_b32 v1, 7, v0 bitop3:0x40
	s_wait_kmcnt 0x0
	s_delay_alu instid0(VALU_DEP_1) | instskip(NEXT) | instid1(VALU_DEP_2)
	v_lshl_add_u64 v[4:5], v[6:7], 2, s[2:3]
	v_subrev_nc_u32_e32 v8, s10, v1
	global_load_b64 v[4:5], v[4:5], off
	s_wait_loadcnt 0x0
	v_subrev_nc_u32_e32 v12, s10, v5
	v_add_nc_u32_e32 v4, v4, v8
	s_delay_alu instid0(VALU_DEP_1)
	v_cmp_lt_i32_e32 vcc_lo, v4, v12
	s_and_b32 exec_lo, exec_lo, vcc_lo
	s_cbranch_execz .LBB13_8
; %bb.4:
	s_clause 0x1
	s_load_b128 s[4:7], s[0:1], 0x30
	s_load_b64 s[2:3], s[0:1], 0x40
	v_mbcnt_lo_u32_b32 v9, -1, 0
	s_wait_kmcnt 0x0
	v_lshl_add_u64 v[6:7], v[6:7], 2, s[6:7]
	global_load_b32 v5, v[6:7], off
	s_clause 0x2
	s_load_b32 s11, s[0:1], 0x2c
	s_load_b64 s[6:7], s[0:1], 0x10
	s_load_b64 s[8:9], s[0:1], 0x20
	v_not_b32_e32 v6, v1
	v_dual_mov_b32 v1, 0 :: v_dual_bitop2_b32 v7, 24, v0 bitop3:0x40
	s_wait_xcnt 0x0
	s_mov_b32 s1, 0
	s_delay_alu instid0(VALU_DEP_2) | instskip(NEXT) | instid1(VALU_DEP_1)
	v_lshrrev_b32_e64 v0, v6, -1
	v_lshlrev_b64_e32 v[6:7], v7, v[0:1]
	v_lshl_or_b32 v7, v9, 2, 28
	s_wait_kmcnt 0x0
	s_sub_co_i32 s10, s11, s10
	s_wait_loadcnt 0x0
	v_subrev_nc_u32_e32 v8, s11, v5
	s_branch .LBB13_6
.LBB13_5:                               ;   in Loop: Header=BB13_6 Depth=1
	s_wait_xcnt 0x0
	s_or_b32 exec_lo, exec_lo, s0
	ds_bpermute_b32 v0, v7, v0
	v_add_nc_u32_e32 v4, 8, v4
	s_delay_alu instid0(VALU_DEP_1)
	v_cmp_ge_i32_e32 vcc_lo, v4, v12
	s_or_b32 s1, vcc_lo, s1
	s_wait_dscnt 0x0
	v_add_nc_u32_e32 v8, v0, v8
	s_and_not1_b32 exec_lo, exec_lo, s1
	s_cbranch_execz .LBB13_8
.LBB13_6:                               ; =>This Inner Loop Header: Depth=1
	global_load_b64 v[10:11], v4, s[6:7] scale_offset
	v_ashrrev_i32_e32 v5, 31, v4
	s_wait_loadcnt 0x0
	v_cmp_gt_f64_e32 vcc_lo, 0, v[10:11]
	v_xor_b32_e32 v0, 0x80000000, v11
	s_delay_alu instid0(VALU_DEP_1) | instskip(SKIP_1) | instid1(VALU_DEP_1)
	v_dual_mov_b32 v14, v10 :: v_dual_cndmask_b32 v15, v11, v0
	s_wait_dscnt 0x0
	v_cmp_gt_f64_e32 vcc_lo, v[14:15], v[2:3]
	v_cmp_lt_f64_e64 s0, 0x38100000, v[14:15]
	s_and_b32 s11, vcc_lo, s0
	s_delay_alu instid0(SALU_CYCLE_1) | instskip(NEXT) | instid1(VALU_DEP_1)
	v_cndmask_b32_e64 v0, 0, 1, s11
	v_cmp_ne_u32_e32 vcc_lo, 0, v0
	v_and_b32_e32 v0, vcc_lo, v6
	s_delay_alu instid0(VALU_DEP_1)
	v_bcnt_u32_b32 v0, v0, 0
	s_wait_xcnt 0x0
	s_and_saveexec_b32 s0, s11
	s_cbranch_execz .LBB13_5
; %bb.7:                                ;   in Loop: Header=BB13_6 Depth=1
	v_lshl_add_u64 v[14:15], v[4:5], 2, s[8:9]
	global_load_b32 v5, v[14:15], off
	s_wait_loadcnt 0x0
	v_dual_ashrrev_i32 v9, 31, v8 :: v_dual_add_nc_u32 v5, s10, v5
	s_wait_xcnt 0x0
	s_delay_alu instid0(VALU_DEP_1) | instskip(NEXT) | instid1(VALU_DEP_1)
	v_add_nc_u64_e32 v[14:15], v[8:9], v[0:1]
	v_lshl_add_u64 v[16:17], v[14:15], 3, s[4:5]
	v_lshl_add_u64 v[14:15], v[14:15], 2, s[2:3]
	global_store_b64 v[16:17], v[10:11], off offset:-8
	global_store_b32 v[14:15], v5, off offset:-4
	s_branch .LBB13_5
.LBB13_8:
	s_endpgm
	.section	.rodata,"a",@progbits
	.p2align	6, 0x0
	.amdhsa_kernel _ZN9rocsparseL23csr2csr_compress_kernelILi1024ELi128ELi8ELi32EdEEvii21rocsparse_index_base_PKT3_PKiS6_iS1_PS2_S6_PiNS_24const_host_device_scalarIS2_EEb
		.amdhsa_group_segment_fixed_size 0
		.amdhsa_private_segment_fixed_size 0
		.amdhsa_kernarg_size 84
		.amdhsa_user_sgpr_count 2
		.amdhsa_user_sgpr_dispatch_ptr 0
		.amdhsa_user_sgpr_queue_ptr 0
		.amdhsa_user_sgpr_kernarg_segment_ptr 1
		.amdhsa_user_sgpr_dispatch_id 0
		.amdhsa_user_sgpr_kernarg_preload_length 0
		.amdhsa_user_sgpr_kernarg_preload_offset 0
		.amdhsa_user_sgpr_private_segment_size 0
		.amdhsa_wavefront_size32 1
		.amdhsa_uses_dynamic_stack 0
		.amdhsa_enable_private_segment 0
		.amdhsa_system_sgpr_workgroup_id_x 1
		.amdhsa_system_sgpr_workgroup_id_y 0
		.amdhsa_system_sgpr_workgroup_id_z 0
		.amdhsa_system_sgpr_workgroup_info 0
		.amdhsa_system_vgpr_workitem_id 0
		.amdhsa_next_free_vgpr 18
		.amdhsa_next_free_sgpr 12
		.amdhsa_named_barrier_count 0
		.amdhsa_reserve_vcc 1
		.amdhsa_float_round_mode_32 0
		.amdhsa_float_round_mode_16_64 0
		.amdhsa_float_denorm_mode_32 3
		.amdhsa_float_denorm_mode_16_64 3
		.amdhsa_fp16_overflow 0
		.amdhsa_memory_ordered 1
		.amdhsa_forward_progress 1
		.amdhsa_inst_pref_size 5
		.amdhsa_round_robin_scheduling 0
		.amdhsa_exception_fp_ieee_invalid_op 0
		.amdhsa_exception_fp_denorm_src 0
		.amdhsa_exception_fp_ieee_div_zero 0
		.amdhsa_exception_fp_ieee_overflow 0
		.amdhsa_exception_fp_ieee_underflow 0
		.amdhsa_exception_fp_ieee_inexact 0
		.amdhsa_exception_int_div_zero 0
	.end_amdhsa_kernel
	.section	.text._ZN9rocsparseL23csr2csr_compress_kernelILi1024ELi128ELi8ELi32EdEEvii21rocsparse_index_base_PKT3_PKiS6_iS1_PS2_S6_PiNS_24const_host_device_scalarIS2_EEb,"axG",@progbits,_ZN9rocsparseL23csr2csr_compress_kernelILi1024ELi128ELi8ELi32EdEEvii21rocsparse_index_base_PKT3_PKiS6_iS1_PS2_S6_PiNS_24const_host_device_scalarIS2_EEb,comdat
.Lfunc_end13:
	.size	_ZN9rocsparseL23csr2csr_compress_kernelILi1024ELi128ELi8ELi32EdEEvii21rocsparse_index_base_PKT3_PKiS6_iS1_PS2_S6_PiNS_24const_host_device_scalarIS2_EEb, .Lfunc_end13-_ZN9rocsparseL23csr2csr_compress_kernelILi1024ELi128ELi8ELi32EdEEvii21rocsparse_index_base_PKT3_PKiS6_iS1_PS2_S6_PiNS_24const_host_device_scalarIS2_EEb
                                        ; -- End function
	.set _ZN9rocsparseL23csr2csr_compress_kernelILi1024ELi128ELi8ELi32EdEEvii21rocsparse_index_base_PKT3_PKiS6_iS1_PS2_S6_PiNS_24const_host_device_scalarIS2_EEb.num_vgpr, 18
	.set _ZN9rocsparseL23csr2csr_compress_kernelILi1024ELi128ELi8ELi32EdEEvii21rocsparse_index_base_PKT3_PKiS6_iS1_PS2_S6_PiNS_24const_host_device_scalarIS2_EEb.num_agpr, 0
	.set _ZN9rocsparseL23csr2csr_compress_kernelILi1024ELi128ELi8ELi32EdEEvii21rocsparse_index_base_PKT3_PKiS6_iS1_PS2_S6_PiNS_24const_host_device_scalarIS2_EEb.numbered_sgpr, 12
	.set _ZN9rocsparseL23csr2csr_compress_kernelILi1024ELi128ELi8ELi32EdEEvii21rocsparse_index_base_PKT3_PKiS6_iS1_PS2_S6_PiNS_24const_host_device_scalarIS2_EEb.num_named_barrier, 0
	.set _ZN9rocsparseL23csr2csr_compress_kernelILi1024ELi128ELi8ELi32EdEEvii21rocsparse_index_base_PKT3_PKiS6_iS1_PS2_S6_PiNS_24const_host_device_scalarIS2_EEb.private_seg_size, 0
	.set _ZN9rocsparseL23csr2csr_compress_kernelILi1024ELi128ELi8ELi32EdEEvii21rocsparse_index_base_PKT3_PKiS6_iS1_PS2_S6_PiNS_24const_host_device_scalarIS2_EEb.uses_vcc, 1
	.set _ZN9rocsparseL23csr2csr_compress_kernelILi1024ELi128ELi8ELi32EdEEvii21rocsparse_index_base_PKT3_PKiS6_iS1_PS2_S6_PiNS_24const_host_device_scalarIS2_EEb.uses_flat_scratch, 0
	.set _ZN9rocsparseL23csr2csr_compress_kernelILi1024ELi128ELi8ELi32EdEEvii21rocsparse_index_base_PKT3_PKiS6_iS1_PS2_S6_PiNS_24const_host_device_scalarIS2_EEb.has_dyn_sized_stack, 0
	.set _ZN9rocsparseL23csr2csr_compress_kernelILi1024ELi128ELi8ELi32EdEEvii21rocsparse_index_base_PKT3_PKiS6_iS1_PS2_S6_PiNS_24const_host_device_scalarIS2_EEb.has_recursion, 0
	.set _ZN9rocsparseL23csr2csr_compress_kernelILi1024ELi128ELi8ELi32EdEEvii21rocsparse_index_base_PKT3_PKiS6_iS1_PS2_S6_PiNS_24const_host_device_scalarIS2_EEb.has_indirect_call, 0
	.section	.AMDGPU.csdata,"",@progbits
; Kernel info:
; codeLenInByte = 628
; TotalNumSgprs: 14
; NumVgprs: 18
; ScratchSize: 0
; MemoryBound: 0
; FloatMode: 240
; IeeeMode: 1
; LDSByteSize: 0 bytes/workgroup (compile time only)
; SGPRBlocks: 0
; VGPRBlocks: 1
; NumSGPRsForWavesPerEU: 14
; NumVGPRsForWavesPerEU: 18
; NamedBarCnt: 0
; Occupancy: 16
; WaveLimiterHint : 0
; COMPUTE_PGM_RSRC2:SCRATCH_EN: 0
; COMPUTE_PGM_RSRC2:USER_SGPR: 2
; COMPUTE_PGM_RSRC2:TRAP_HANDLER: 0
; COMPUTE_PGM_RSRC2:TGID_X_EN: 1
; COMPUTE_PGM_RSRC2:TGID_Y_EN: 0
; COMPUTE_PGM_RSRC2:TGID_Z_EN: 0
; COMPUTE_PGM_RSRC2:TIDIG_COMP_CNT: 0
	.section	.text._ZN9rocsparseL23csr2csr_compress_kernelILi1024ELi64ELi16ELi32EdEEvii21rocsparse_index_base_PKT3_PKiS6_iS1_PS2_S6_PiNS_24const_host_device_scalarIS2_EEb,"axG",@progbits,_ZN9rocsparseL23csr2csr_compress_kernelILi1024ELi64ELi16ELi32EdEEvii21rocsparse_index_base_PKT3_PKiS6_iS1_PS2_S6_PiNS_24const_host_device_scalarIS2_EEb,comdat
	.globl	_ZN9rocsparseL23csr2csr_compress_kernelILi1024ELi64ELi16ELi32EdEEvii21rocsparse_index_base_PKT3_PKiS6_iS1_PS2_S6_PiNS_24const_host_device_scalarIS2_EEb ; -- Begin function _ZN9rocsparseL23csr2csr_compress_kernelILi1024ELi64ELi16ELi32EdEEvii21rocsparse_index_base_PKT3_PKiS6_iS1_PS2_S6_PiNS_24const_host_device_scalarIS2_EEb
	.p2align	8
	.type	_ZN9rocsparseL23csr2csr_compress_kernelILi1024ELi64ELi16ELi32EdEEvii21rocsparse_index_base_PKT3_PKiS6_iS1_PS2_S6_PiNS_24const_host_device_scalarIS2_EEb,@function
_ZN9rocsparseL23csr2csr_compress_kernelILi1024ELi64ELi16ELi32EdEEvii21rocsparse_index_base_PKT3_PKiS6_iS1_PS2_S6_PiNS_24const_host_device_scalarIS2_EEb: ; @_ZN9rocsparseL23csr2csr_compress_kernelILi1024ELi64ELi16ELi32EdEEvii21rocsparse_index_base_PKT3_PKiS6_iS1_PS2_S6_PiNS_24const_host_device_scalarIS2_EEb
; %bb.0:
	s_load_b96 s[4:6], s[0:1], 0x48
	s_wait_kmcnt 0x0
	v_mov_b64_e32 v[2:3], s[4:5]
	s_bitcmp1_b32 s6, 0
	s_cselect_b32 s2, -1, 0
	s_delay_alu instid0(SALU_CYCLE_1)
	s_and_b32 vcc_lo, exec_lo, s2
	s_cbranch_vccnz .LBB14_2
; %bb.1:
	v_mov_b32_e32 v1, 0
	flat_load_b64 v[2:3], v1, s[4:5]
.LBB14_2:
	s_load_b32 s2, s[0:1], 0x0
	s_bfe_u32 s3, ttmp6, 0x4000c
	s_and_b32 s4, ttmp6, 15
	s_add_co_i32 s3, s3, 1
	s_getreg_b32 s5, hwreg(HW_REG_IB_STS2, 6, 4)
	s_mul_i32 s3, ttmp9, s3
	v_lshrrev_b32_e32 v1, 4, v0
	s_add_co_i32 s4, s4, s3
	s_cmp_eq_u32 s5, 0
	s_cselect_b32 s3, ttmp9, s4
	s_delay_alu instid0(VALU_DEP_1) | instid1(SALU_CYCLE_1)
	v_lshl_or_b32 v6, s3, 6, v1
	s_wait_kmcnt 0x0
	s_delay_alu instid0(VALU_DEP_1)
	v_cmp_gt_i32_e32 vcc_lo, s2, v6
	s_and_saveexec_b32 s2, vcc_lo
	s_cbranch_execz .LBB14_8
; %bb.3:
	s_clause 0x1
	s_load_b64 s[2:3], s[0:1], 0x18
	s_load_b32 s10, s[0:1], 0x8
	v_dual_ashrrev_i32 v7, 31, v6 :: v_dual_bitop2_b32 v1, 15, v0 bitop3:0x40
	s_wait_kmcnt 0x0
	s_delay_alu instid0(VALU_DEP_1) | instskip(NEXT) | instid1(VALU_DEP_2)
	v_lshl_add_u64 v[4:5], v[6:7], 2, s[2:3]
	v_subrev_nc_u32_e32 v8, s10, v1
	global_load_b64 v[4:5], v[4:5], off
	s_wait_loadcnt 0x0
	v_subrev_nc_u32_e32 v12, s10, v5
	v_add_nc_u32_e32 v4, v4, v8
	s_delay_alu instid0(VALU_DEP_1)
	v_cmp_lt_i32_e32 vcc_lo, v4, v12
	s_and_b32 exec_lo, exec_lo, vcc_lo
	s_cbranch_execz .LBB14_8
; %bb.4:
	s_clause 0x1
	s_load_b128 s[4:7], s[0:1], 0x30
	s_load_b64 s[2:3], s[0:1], 0x40
	v_mbcnt_lo_u32_b32 v9, -1, 0
	s_wait_kmcnt 0x0
	v_lshl_add_u64 v[6:7], v[6:7], 2, s[6:7]
	global_load_b32 v5, v[6:7], off
	s_clause 0x2
	s_load_b32 s11, s[0:1], 0x2c
	s_load_b64 s[6:7], s[0:1], 0x10
	s_load_b64 s[8:9], s[0:1], 0x20
	v_not_b32_e32 v6, v1
	v_dual_mov_b32 v1, 0 :: v_dual_bitop2_b32 v7, 16, v0 bitop3:0x40
	s_wait_xcnt 0x0
	s_mov_b32 s1, 0
	s_delay_alu instid0(VALU_DEP_2) | instskip(NEXT) | instid1(VALU_DEP_1)
	v_lshrrev_b32_e64 v0, v6, -1
	v_lshlrev_b64_e32 v[6:7], v7, v[0:1]
	v_lshl_or_b32 v7, v9, 2, 60
	s_wait_kmcnt 0x0
	s_sub_co_i32 s10, s11, s10
	s_wait_loadcnt 0x0
	v_subrev_nc_u32_e32 v8, s11, v5
	s_branch .LBB14_6
.LBB14_5:                               ;   in Loop: Header=BB14_6 Depth=1
	s_wait_xcnt 0x0
	s_or_b32 exec_lo, exec_lo, s0
	ds_bpermute_b32 v0, v7, v0
	v_add_nc_u32_e32 v4, 16, v4
	s_delay_alu instid0(VALU_DEP_1)
	v_cmp_ge_i32_e32 vcc_lo, v4, v12
	s_or_b32 s1, vcc_lo, s1
	s_wait_dscnt 0x0
	v_add_nc_u32_e32 v8, v0, v8
	s_and_not1_b32 exec_lo, exec_lo, s1
	s_cbranch_execz .LBB14_8
.LBB14_6:                               ; =>This Inner Loop Header: Depth=1
	global_load_b64 v[10:11], v4, s[6:7] scale_offset
	v_ashrrev_i32_e32 v5, 31, v4
	s_wait_loadcnt 0x0
	v_cmp_gt_f64_e32 vcc_lo, 0, v[10:11]
	v_xor_b32_e32 v0, 0x80000000, v11
	s_delay_alu instid0(VALU_DEP_1) | instskip(SKIP_1) | instid1(VALU_DEP_1)
	v_dual_mov_b32 v14, v10 :: v_dual_cndmask_b32 v15, v11, v0
	s_wait_dscnt 0x0
	v_cmp_gt_f64_e32 vcc_lo, v[14:15], v[2:3]
	v_cmp_lt_f64_e64 s0, 0x38100000, v[14:15]
	s_and_b32 s11, vcc_lo, s0
	s_delay_alu instid0(SALU_CYCLE_1) | instskip(NEXT) | instid1(VALU_DEP_1)
	v_cndmask_b32_e64 v0, 0, 1, s11
	v_cmp_ne_u32_e32 vcc_lo, 0, v0
	v_and_b32_e32 v0, vcc_lo, v6
	s_delay_alu instid0(VALU_DEP_1)
	v_bcnt_u32_b32 v0, v0, 0
	s_wait_xcnt 0x0
	s_and_saveexec_b32 s0, s11
	s_cbranch_execz .LBB14_5
; %bb.7:                                ;   in Loop: Header=BB14_6 Depth=1
	v_lshl_add_u64 v[14:15], v[4:5], 2, s[8:9]
	global_load_b32 v5, v[14:15], off
	s_wait_loadcnt 0x0
	v_dual_ashrrev_i32 v9, 31, v8 :: v_dual_add_nc_u32 v5, s10, v5
	s_wait_xcnt 0x0
	s_delay_alu instid0(VALU_DEP_1) | instskip(NEXT) | instid1(VALU_DEP_1)
	v_add_nc_u64_e32 v[14:15], v[8:9], v[0:1]
	v_lshl_add_u64 v[16:17], v[14:15], 3, s[4:5]
	v_lshl_add_u64 v[14:15], v[14:15], 2, s[2:3]
	global_store_b64 v[16:17], v[10:11], off offset:-8
	global_store_b32 v[14:15], v5, off offset:-4
	s_branch .LBB14_5
.LBB14_8:
	s_endpgm
	.section	.rodata,"a",@progbits
	.p2align	6, 0x0
	.amdhsa_kernel _ZN9rocsparseL23csr2csr_compress_kernelILi1024ELi64ELi16ELi32EdEEvii21rocsparse_index_base_PKT3_PKiS6_iS1_PS2_S6_PiNS_24const_host_device_scalarIS2_EEb
		.amdhsa_group_segment_fixed_size 0
		.amdhsa_private_segment_fixed_size 0
		.amdhsa_kernarg_size 84
		.amdhsa_user_sgpr_count 2
		.amdhsa_user_sgpr_dispatch_ptr 0
		.amdhsa_user_sgpr_queue_ptr 0
		.amdhsa_user_sgpr_kernarg_segment_ptr 1
		.amdhsa_user_sgpr_dispatch_id 0
		.amdhsa_user_sgpr_kernarg_preload_length 0
		.amdhsa_user_sgpr_kernarg_preload_offset 0
		.amdhsa_user_sgpr_private_segment_size 0
		.amdhsa_wavefront_size32 1
		.amdhsa_uses_dynamic_stack 0
		.amdhsa_enable_private_segment 0
		.amdhsa_system_sgpr_workgroup_id_x 1
		.amdhsa_system_sgpr_workgroup_id_y 0
		.amdhsa_system_sgpr_workgroup_id_z 0
		.amdhsa_system_sgpr_workgroup_info 0
		.amdhsa_system_vgpr_workitem_id 0
		.amdhsa_next_free_vgpr 18
		.amdhsa_next_free_sgpr 12
		.amdhsa_named_barrier_count 0
		.amdhsa_reserve_vcc 1
		.amdhsa_float_round_mode_32 0
		.amdhsa_float_round_mode_16_64 0
		.amdhsa_float_denorm_mode_32 3
		.amdhsa_float_denorm_mode_16_64 3
		.amdhsa_fp16_overflow 0
		.amdhsa_memory_ordered 1
		.amdhsa_forward_progress 1
		.amdhsa_inst_pref_size 5
		.amdhsa_round_robin_scheduling 0
		.amdhsa_exception_fp_ieee_invalid_op 0
		.amdhsa_exception_fp_denorm_src 0
		.amdhsa_exception_fp_ieee_div_zero 0
		.amdhsa_exception_fp_ieee_overflow 0
		.amdhsa_exception_fp_ieee_underflow 0
		.amdhsa_exception_fp_ieee_inexact 0
		.amdhsa_exception_int_div_zero 0
	.end_amdhsa_kernel
	.section	.text._ZN9rocsparseL23csr2csr_compress_kernelILi1024ELi64ELi16ELi32EdEEvii21rocsparse_index_base_PKT3_PKiS6_iS1_PS2_S6_PiNS_24const_host_device_scalarIS2_EEb,"axG",@progbits,_ZN9rocsparseL23csr2csr_compress_kernelILi1024ELi64ELi16ELi32EdEEvii21rocsparse_index_base_PKT3_PKiS6_iS1_PS2_S6_PiNS_24const_host_device_scalarIS2_EEb,comdat
.Lfunc_end14:
	.size	_ZN9rocsparseL23csr2csr_compress_kernelILi1024ELi64ELi16ELi32EdEEvii21rocsparse_index_base_PKT3_PKiS6_iS1_PS2_S6_PiNS_24const_host_device_scalarIS2_EEb, .Lfunc_end14-_ZN9rocsparseL23csr2csr_compress_kernelILi1024ELi64ELi16ELi32EdEEvii21rocsparse_index_base_PKT3_PKiS6_iS1_PS2_S6_PiNS_24const_host_device_scalarIS2_EEb
                                        ; -- End function
	.set _ZN9rocsparseL23csr2csr_compress_kernelILi1024ELi64ELi16ELi32EdEEvii21rocsparse_index_base_PKT3_PKiS6_iS1_PS2_S6_PiNS_24const_host_device_scalarIS2_EEb.num_vgpr, 18
	.set _ZN9rocsparseL23csr2csr_compress_kernelILi1024ELi64ELi16ELi32EdEEvii21rocsparse_index_base_PKT3_PKiS6_iS1_PS2_S6_PiNS_24const_host_device_scalarIS2_EEb.num_agpr, 0
	.set _ZN9rocsparseL23csr2csr_compress_kernelILi1024ELi64ELi16ELi32EdEEvii21rocsparse_index_base_PKT3_PKiS6_iS1_PS2_S6_PiNS_24const_host_device_scalarIS2_EEb.numbered_sgpr, 12
	.set _ZN9rocsparseL23csr2csr_compress_kernelILi1024ELi64ELi16ELi32EdEEvii21rocsparse_index_base_PKT3_PKiS6_iS1_PS2_S6_PiNS_24const_host_device_scalarIS2_EEb.num_named_barrier, 0
	.set _ZN9rocsparseL23csr2csr_compress_kernelILi1024ELi64ELi16ELi32EdEEvii21rocsparse_index_base_PKT3_PKiS6_iS1_PS2_S6_PiNS_24const_host_device_scalarIS2_EEb.private_seg_size, 0
	.set _ZN9rocsparseL23csr2csr_compress_kernelILi1024ELi64ELi16ELi32EdEEvii21rocsparse_index_base_PKT3_PKiS6_iS1_PS2_S6_PiNS_24const_host_device_scalarIS2_EEb.uses_vcc, 1
	.set _ZN9rocsparseL23csr2csr_compress_kernelILi1024ELi64ELi16ELi32EdEEvii21rocsparse_index_base_PKT3_PKiS6_iS1_PS2_S6_PiNS_24const_host_device_scalarIS2_EEb.uses_flat_scratch, 0
	.set _ZN9rocsparseL23csr2csr_compress_kernelILi1024ELi64ELi16ELi32EdEEvii21rocsparse_index_base_PKT3_PKiS6_iS1_PS2_S6_PiNS_24const_host_device_scalarIS2_EEb.has_dyn_sized_stack, 0
	.set _ZN9rocsparseL23csr2csr_compress_kernelILi1024ELi64ELi16ELi32EdEEvii21rocsparse_index_base_PKT3_PKiS6_iS1_PS2_S6_PiNS_24const_host_device_scalarIS2_EEb.has_recursion, 0
	.set _ZN9rocsparseL23csr2csr_compress_kernelILi1024ELi64ELi16ELi32EdEEvii21rocsparse_index_base_PKT3_PKiS6_iS1_PS2_S6_PiNS_24const_host_device_scalarIS2_EEb.has_indirect_call, 0
	.section	.AMDGPU.csdata,"",@progbits
; Kernel info:
; codeLenInByte = 628
; TotalNumSgprs: 14
; NumVgprs: 18
; ScratchSize: 0
; MemoryBound: 0
; FloatMode: 240
; IeeeMode: 1
; LDSByteSize: 0 bytes/workgroup (compile time only)
; SGPRBlocks: 0
; VGPRBlocks: 1
; NumSGPRsForWavesPerEU: 14
; NumVGPRsForWavesPerEU: 18
; NamedBarCnt: 0
; Occupancy: 16
; WaveLimiterHint : 0
; COMPUTE_PGM_RSRC2:SCRATCH_EN: 0
; COMPUTE_PGM_RSRC2:USER_SGPR: 2
; COMPUTE_PGM_RSRC2:TRAP_HANDLER: 0
; COMPUTE_PGM_RSRC2:TGID_X_EN: 1
; COMPUTE_PGM_RSRC2:TGID_Y_EN: 0
; COMPUTE_PGM_RSRC2:TGID_Z_EN: 0
; COMPUTE_PGM_RSRC2:TIDIG_COMP_CNT: 0
	.section	.text._ZN9rocsparseL23csr2csr_compress_kernelILi1024ELi32ELi32ELi32EdEEvii21rocsparse_index_base_PKT3_PKiS6_iS1_PS2_S6_PiNS_24const_host_device_scalarIS2_EEb,"axG",@progbits,_ZN9rocsparseL23csr2csr_compress_kernelILi1024ELi32ELi32ELi32EdEEvii21rocsparse_index_base_PKT3_PKiS6_iS1_PS2_S6_PiNS_24const_host_device_scalarIS2_EEb,comdat
	.globl	_ZN9rocsparseL23csr2csr_compress_kernelILi1024ELi32ELi32ELi32EdEEvii21rocsparse_index_base_PKT3_PKiS6_iS1_PS2_S6_PiNS_24const_host_device_scalarIS2_EEb ; -- Begin function _ZN9rocsparseL23csr2csr_compress_kernelILi1024ELi32ELi32ELi32EdEEvii21rocsparse_index_base_PKT3_PKiS6_iS1_PS2_S6_PiNS_24const_host_device_scalarIS2_EEb
	.p2align	8
	.type	_ZN9rocsparseL23csr2csr_compress_kernelILi1024ELi32ELi32ELi32EdEEvii21rocsparse_index_base_PKT3_PKiS6_iS1_PS2_S6_PiNS_24const_host_device_scalarIS2_EEb,@function
_ZN9rocsparseL23csr2csr_compress_kernelILi1024ELi32ELi32ELi32EdEEvii21rocsparse_index_base_PKT3_PKiS6_iS1_PS2_S6_PiNS_24const_host_device_scalarIS2_EEb: ; @_ZN9rocsparseL23csr2csr_compress_kernelILi1024ELi32ELi32ELi32EdEEvii21rocsparse_index_base_PKT3_PKiS6_iS1_PS2_S6_PiNS_24const_host_device_scalarIS2_EEb
; %bb.0:
	s_load_b96 s[4:6], s[0:1], 0x48
	s_wait_kmcnt 0x0
	v_mov_b64_e32 v[2:3], s[4:5]
	s_bitcmp1_b32 s6, 0
	s_cselect_b32 s2, -1, 0
	s_delay_alu instid0(SALU_CYCLE_1)
	s_and_b32 vcc_lo, exec_lo, s2
	s_cbranch_vccnz .LBB15_2
; %bb.1:
	v_mov_b32_e32 v1, 0
	flat_load_b64 v[2:3], v1, s[4:5]
.LBB15_2:
	s_load_b32 s2, s[0:1], 0x0
	s_bfe_u32 s3, ttmp6, 0x4000c
	s_and_b32 s4, ttmp6, 15
	s_add_co_i32 s3, s3, 1
	s_getreg_b32 s5, hwreg(HW_REG_IB_STS2, 6, 4)
	s_mul_i32 s3, ttmp9, s3
	v_lshrrev_b32_e32 v1, 5, v0
	s_add_co_i32 s4, s4, s3
	s_cmp_eq_u32 s5, 0
	s_cselect_b32 s3, ttmp9, s4
	s_delay_alu instid0(VALU_DEP_1) | instid1(SALU_CYCLE_1)
	v_lshl_or_b32 v4, s3, 5, v1
	s_wait_kmcnt 0x0
	s_delay_alu instid0(VALU_DEP_1)
	v_cmp_gt_i32_e32 vcc_lo, s2, v4
	s_and_saveexec_b32 s2, vcc_lo
	s_cbranch_execz .LBB15_8
; %bb.3:
	s_clause 0x1
	s_load_b64 s[2:3], s[0:1], 0x18
	s_load_b32 s10, s[0:1], 0x8
	v_ashrrev_i32_e32 v5, 31, v4
	s_wait_kmcnt 0x0
	s_delay_alu instid0(VALU_DEP_1) | instskip(SKIP_2) | instid1(VALU_DEP_1)
	v_lshl_add_u64 v[6:7], v[4:5], 2, s[2:3]
	global_load_b64 v[6:7], v[6:7], off
	v_and_b32_e32 v1, 31, v0
	v_subrev_nc_u32_e32 v0, s10, v1
	s_wait_loadcnt 0x0
	v_subrev_nc_u32_e32 v7, s10, v7
	s_delay_alu instid0(VALU_DEP_2) | instskip(NEXT) | instid1(VALU_DEP_1)
	v_add_nc_u32_e32 v0, v6, v0
	v_cmp_lt_i32_e32 vcc_lo, v0, v7
	s_and_b32 exec_lo, exec_lo, vcc_lo
	s_cbranch_execz .LBB15_8
; %bb.4:
	s_clause 0x1
	s_load_b128 s[4:7], s[0:1], 0x30
	s_load_b64 s[2:3], s[0:1], 0x40
	v_xor_b32_e32 v1, 31, v1
	v_mov_b32_e32 v12, 0x7c
	s_wait_kmcnt 0x0
	v_lshl_add_u64 v[4:5], v[4:5], 2, s[6:7]
	global_load_b32 v4, v[4:5], off
	s_clause 0x2
	s_load_b32 s11, s[0:1], 0x2c
	s_load_b64 s[6:7], s[0:1], 0x10
	s_load_b64 s[8:9], s[0:1], 0x20
	v_mov_b32_e32 v5, 0
	v_lshrrev_b32_e64 v6, v1, -1
	s_wait_xcnt 0x0
	s_mov_b32 s1, 0
	s_wait_kmcnt 0x0
	s_sub_co_i32 s10, s11, s10
	s_wait_loadcnt 0x0
	v_subrev_nc_u32_e32 v8, s11, v4
	s_branch .LBB15_6
.LBB15_5:                               ;   in Loop: Header=BB15_6 Depth=1
	s_wait_xcnt 0x0
	s_or_b32 exec_lo, exec_lo, s0
	ds_bpermute_b32 v1, v12, v4
	v_add_nc_u32_e32 v0, 32, v0
	s_delay_alu instid0(VALU_DEP_1)
	v_cmp_ge_i32_e32 vcc_lo, v0, v7
	s_or_b32 s1, vcc_lo, s1
	s_wait_dscnt 0x0
	v_add_nc_u32_e32 v8, v1, v8
	s_and_not1_b32 exec_lo, exec_lo, s1
	s_cbranch_execz .LBB15_8
.LBB15_6:                               ; =>This Inner Loop Header: Depth=1
	global_load_b64 v[10:11], v0, s[6:7] scale_offset
	s_wait_loadcnt 0x0
	v_cmp_gt_f64_e32 vcc_lo, 0, v[10:11]
	v_xor_b32_e32 v1, 0x80000000, v11
	s_delay_alu instid0(VALU_DEP_1) | instskip(SKIP_1) | instid1(VALU_DEP_1)
	v_dual_mov_b32 v14, v10 :: v_dual_cndmask_b32 v15, v11, v1
	s_wait_dscnt 0x0
	v_cmp_gt_f64_e32 vcc_lo, v[14:15], v[2:3]
	v_cmp_lt_f64_e64 s0, 0x38100000, v[14:15]
	s_and_b32 s11, vcc_lo, s0
	s_delay_alu instid0(SALU_CYCLE_1) | instskip(NEXT) | instid1(VALU_DEP_1)
	v_cndmask_b32_e64 v1, 0, 1, s11
	v_cmp_ne_u32_e32 vcc_lo, 0, v1
	v_dual_ashrrev_i32 v1, 31, v0 :: v_dual_bitop2_b32 v4, vcc_lo, v6 bitop3:0x40
	s_delay_alu instid0(VALU_DEP_1)
	v_bcnt_u32_b32 v4, v4, 0
	s_wait_xcnt 0x0
	s_and_saveexec_b32 s0, s11
	s_cbranch_execz .LBB15_5
; %bb.7:                                ;   in Loop: Header=BB15_6 Depth=1
	v_lshl_add_u64 v[14:15], v[0:1], 2, s[8:9]
	global_load_b32 v1, v[14:15], off
	s_wait_loadcnt 0x0
	v_dual_ashrrev_i32 v9, 31, v8 :: v_dual_add_nc_u32 v1, s10, v1
	s_wait_xcnt 0x0
	s_delay_alu instid0(VALU_DEP_1) | instskip(NEXT) | instid1(VALU_DEP_1)
	v_add_nc_u64_e32 v[14:15], v[8:9], v[4:5]
	v_lshl_add_u64 v[16:17], v[14:15], 3, s[4:5]
	v_lshl_add_u64 v[14:15], v[14:15], 2, s[2:3]
	global_store_b64 v[16:17], v[10:11], off offset:-8
	global_store_b32 v[14:15], v1, off offset:-4
	s_branch .LBB15_5
.LBB15_8:
	s_endpgm
	.section	.rodata,"a",@progbits
	.p2align	6, 0x0
	.amdhsa_kernel _ZN9rocsparseL23csr2csr_compress_kernelILi1024ELi32ELi32ELi32EdEEvii21rocsparse_index_base_PKT3_PKiS6_iS1_PS2_S6_PiNS_24const_host_device_scalarIS2_EEb
		.amdhsa_group_segment_fixed_size 0
		.amdhsa_private_segment_fixed_size 0
		.amdhsa_kernarg_size 84
		.amdhsa_user_sgpr_count 2
		.amdhsa_user_sgpr_dispatch_ptr 0
		.amdhsa_user_sgpr_queue_ptr 0
		.amdhsa_user_sgpr_kernarg_segment_ptr 1
		.amdhsa_user_sgpr_dispatch_id 0
		.amdhsa_user_sgpr_kernarg_preload_length 0
		.amdhsa_user_sgpr_kernarg_preload_offset 0
		.amdhsa_user_sgpr_private_segment_size 0
		.amdhsa_wavefront_size32 1
		.amdhsa_uses_dynamic_stack 0
		.amdhsa_enable_private_segment 0
		.amdhsa_system_sgpr_workgroup_id_x 1
		.amdhsa_system_sgpr_workgroup_id_y 0
		.amdhsa_system_sgpr_workgroup_id_z 0
		.amdhsa_system_sgpr_workgroup_info 0
		.amdhsa_system_vgpr_workitem_id 0
		.amdhsa_next_free_vgpr 18
		.amdhsa_next_free_sgpr 12
		.amdhsa_named_barrier_count 0
		.amdhsa_reserve_vcc 1
		.amdhsa_float_round_mode_32 0
		.amdhsa_float_round_mode_16_64 0
		.amdhsa_float_denorm_mode_32 3
		.amdhsa_float_denorm_mode_16_64 3
		.amdhsa_fp16_overflow 0
		.amdhsa_memory_ordered 1
		.amdhsa_forward_progress 1
		.amdhsa_inst_pref_size 5
		.amdhsa_round_robin_scheduling 0
		.amdhsa_exception_fp_ieee_invalid_op 0
		.amdhsa_exception_fp_denorm_src 0
		.amdhsa_exception_fp_ieee_div_zero 0
		.amdhsa_exception_fp_ieee_overflow 0
		.amdhsa_exception_fp_ieee_underflow 0
		.amdhsa_exception_fp_ieee_inexact 0
		.amdhsa_exception_int_div_zero 0
	.end_amdhsa_kernel
	.section	.text._ZN9rocsparseL23csr2csr_compress_kernelILi1024ELi32ELi32ELi32EdEEvii21rocsparse_index_base_PKT3_PKiS6_iS1_PS2_S6_PiNS_24const_host_device_scalarIS2_EEb,"axG",@progbits,_ZN9rocsparseL23csr2csr_compress_kernelILi1024ELi32ELi32ELi32EdEEvii21rocsparse_index_base_PKT3_PKiS6_iS1_PS2_S6_PiNS_24const_host_device_scalarIS2_EEb,comdat
.Lfunc_end15:
	.size	_ZN9rocsparseL23csr2csr_compress_kernelILi1024ELi32ELi32ELi32EdEEvii21rocsparse_index_base_PKT3_PKiS6_iS1_PS2_S6_PiNS_24const_host_device_scalarIS2_EEb, .Lfunc_end15-_ZN9rocsparseL23csr2csr_compress_kernelILi1024ELi32ELi32ELi32EdEEvii21rocsparse_index_base_PKT3_PKiS6_iS1_PS2_S6_PiNS_24const_host_device_scalarIS2_EEb
                                        ; -- End function
	.set _ZN9rocsparseL23csr2csr_compress_kernelILi1024ELi32ELi32ELi32EdEEvii21rocsparse_index_base_PKT3_PKiS6_iS1_PS2_S6_PiNS_24const_host_device_scalarIS2_EEb.num_vgpr, 18
	.set _ZN9rocsparseL23csr2csr_compress_kernelILi1024ELi32ELi32ELi32EdEEvii21rocsparse_index_base_PKT3_PKiS6_iS1_PS2_S6_PiNS_24const_host_device_scalarIS2_EEb.num_agpr, 0
	.set _ZN9rocsparseL23csr2csr_compress_kernelILi1024ELi32ELi32ELi32EdEEvii21rocsparse_index_base_PKT3_PKiS6_iS1_PS2_S6_PiNS_24const_host_device_scalarIS2_EEb.numbered_sgpr, 12
	.set _ZN9rocsparseL23csr2csr_compress_kernelILi1024ELi32ELi32ELi32EdEEvii21rocsparse_index_base_PKT3_PKiS6_iS1_PS2_S6_PiNS_24const_host_device_scalarIS2_EEb.num_named_barrier, 0
	.set _ZN9rocsparseL23csr2csr_compress_kernelILi1024ELi32ELi32ELi32EdEEvii21rocsparse_index_base_PKT3_PKiS6_iS1_PS2_S6_PiNS_24const_host_device_scalarIS2_EEb.private_seg_size, 0
	.set _ZN9rocsparseL23csr2csr_compress_kernelILi1024ELi32ELi32ELi32EdEEvii21rocsparse_index_base_PKT3_PKiS6_iS1_PS2_S6_PiNS_24const_host_device_scalarIS2_EEb.uses_vcc, 1
	.set _ZN9rocsparseL23csr2csr_compress_kernelILi1024ELi32ELi32ELi32EdEEvii21rocsparse_index_base_PKT3_PKiS6_iS1_PS2_S6_PiNS_24const_host_device_scalarIS2_EEb.uses_flat_scratch, 0
	.set _ZN9rocsparseL23csr2csr_compress_kernelILi1024ELi32ELi32ELi32EdEEvii21rocsparse_index_base_PKT3_PKiS6_iS1_PS2_S6_PiNS_24const_host_device_scalarIS2_EEb.has_dyn_sized_stack, 0
	.set _ZN9rocsparseL23csr2csr_compress_kernelILi1024ELi32ELi32ELi32EdEEvii21rocsparse_index_base_PKT3_PKiS6_iS1_PS2_S6_PiNS_24const_host_device_scalarIS2_EEb.has_recursion, 0
	.set _ZN9rocsparseL23csr2csr_compress_kernelILi1024ELi32ELi32ELi32EdEEvii21rocsparse_index_base_PKT3_PKiS6_iS1_PS2_S6_PiNS_24const_host_device_scalarIS2_EEb.has_indirect_call, 0
	.section	.AMDGPU.csdata,"",@progbits
; Kernel info:
; codeLenInByte = 604
; TotalNumSgprs: 14
; NumVgprs: 18
; ScratchSize: 0
; MemoryBound: 0
; FloatMode: 240
; IeeeMode: 1
; LDSByteSize: 0 bytes/workgroup (compile time only)
; SGPRBlocks: 0
; VGPRBlocks: 1
; NumSGPRsForWavesPerEU: 14
; NumVGPRsForWavesPerEU: 18
; NamedBarCnt: 0
; Occupancy: 16
; WaveLimiterHint : 0
; COMPUTE_PGM_RSRC2:SCRATCH_EN: 0
; COMPUTE_PGM_RSRC2:USER_SGPR: 2
; COMPUTE_PGM_RSRC2:TRAP_HANDLER: 0
; COMPUTE_PGM_RSRC2:TGID_X_EN: 1
; COMPUTE_PGM_RSRC2:TGID_Y_EN: 0
; COMPUTE_PGM_RSRC2:TGID_Z_EN: 0
; COMPUTE_PGM_RSRC2:TIDIG_COMP_CNT: 0
	.section	.text._ZN9rocsparseL23csr2csr_compress_kernelILi1024ELi512ELi2ELi64EdEEvii21rocsparse_index_base_PKT3_PKiS6_iS1_PS2_S6_PiNS_24const_host_device_scalarIS2_EEb,"axG",@progbits,_ZN9rocsparseL23csr2csr_compress_kernelILi1024ELi512ELi2ELi64EdEEvii21rocsparse_index_base_PKT3_PKiS6_iS1_PS2_S6_PiNS_24const_host_device_scalarIS2_EEb,comdat
	.globl	_ZN9rocsparseL23csr2csr_compress_kernelILi1024ELi512ELi2ELi64EdEEvii21rocsparse_index_base_PKT3_PKiS6_iS1_PS2_S6_PiNS_24const_host_device_scalarIS2_EEb ; -- Begin function _ZN9rocsparseL23csr2csr_compress_kernelILi1024ELi512ELi2ELi64EdEEvii21rocsparse_index_base_PKT3_PKiS6_iS1_PS2_S6_PiNS_24const_host_device_scalarIS2_EEb
	.p2align	8
	.type	_ZN9rocsparseL23csr2csr_compress_kernelILi1024ELi512ELi2ELi64EdEEvii21rocsparse_index_base_PKT3_PKiS6_iS1_PS2_S6_PiNS_24const_host_device_scalarIS2_EEb,@function
_ZN9rocsparseL23csr2csr_compress_kernelILi1024ELi512ELi2ELi64EdEEvii21rocsparse_index_base_PKT3_PKiS6_iS1_PS2_S6_PiNS_24const_host_device_scalarIS2_EEb: ; @_ZN9rocsparseL23csr2csr_compress_kernelILi1024ELi512ELi2ELi64EdEEvii21rocsparse_index_base_PKT3_PKiS6_iS1_PS2_S6_PiNS_24const_host_device_scalarIS2_EEb
; %bb.0:
	s_load_b96 s[4:6], s[0:1], 0x48
	s_wait_kmcnt 0x0
	v_mov_b64_e32 v[2:3], s[4:5]
	s_bitcmp1_b32 s6, 0
	s_cselect_b32 s2, -1, 0
	s_delay_alu instid0(SALU_CYCLE_1)
	s_and_b32 vcc_lo, exec_lo, s2
	s_cbranch_vccnz .LBB16_2
; %bb.1:
	v_mov_b32_e32 v1, 0
	flat_load_b64 v[2:3], v1, s[4:5]
.LBB16_2:
	s_load_b32 s2, s[0:1], 0x0
	s_bfe_u32 s3, ttmp6, 0x4000c
	s_and_b32 s4, ttmp6, 15
	s_add_co_i32 s3, s3, 1
	s_getreg_b32 s5, hwreg(HW_REG_IB_STS2, 6, 4)
	s_mul_i32 s3, ttmp9, s3
	v_lshrrev_b32_e32 v1, 1, v0
	s_add_co_i32 s4, s4, s3
	s_cmp_eq_u32 s5, 0
	s_cselect_b32 s3, ttmp9, s4
	s_delay_alu instid0(VALU_DEP_1) | instid1(SALU_CYCLE_1)
	v_lshl_or_b32 v6, s3, 9, v1
	s_wait_kmcnt 0x0
	s_delay_alu instid0(VALU_DEP_1)
	v_cmp_gt_i32_e32 vcc_lo, s2, v6
	s_and_saveexec_b32 s2, vcc_lo
	s_cbranch_execz .LBB16_8
; %bb.3:
	s_clause 0x1
	s_load_b64 s[2:3], s[0:1], 0x18
	s_load_b32 s10, s[0:1], 0x8
	v_dual_ashrrev_i32 v7, 31, v6 :: v_dual_bitop2_b32 v1, 1, v0 bitop3:0x40
	s_wait_kmcnt 0x0
	s_delay_alu instid0(VALU_DEP_1) | instskip(NEXT) | instid1(VALU_DEP_2)
	v_lshl_add_u64 v[4:5], v[6:7], 2, s[2:3]
	v_subrev_nc_u32_e32 v8, s10, v1
	global_load_b64 v[4:5], v[4:5], off
	s_wait_loadcnt 0x0
	v_subrev_nc_u32_e32 v12, s10, v5
	v_add_nc_u32_e32 v4, v4, v8
	s_delay_alu instid0(VALU_DEP_1)
	v_cmp_lt_i32_e32 vcc_lo, v4, v12
	s_and_b32 exec_lo, exec_lo, vcc_lo
	s_cbranch_execz .LBB16_8
; %bb.4:
	s_clause 0x1
	s_load_b128 s[4:7], s[0:1], 0x30
	s_load_b64 s[2:3], s[0:1], 0x40
	v_mbcnt_lo_u32_b32 v9, -1, 0
	s_wait_kmcnt 0x0
	v_lshl_add_u64 v[6:7], v[6:7], 2, s[6:7]
	global_load_b32 v5, v[6:7], off
	s_clause 0x2
	s_load_b32 s11, s[0:1], 0x2c
	s_load_b64 s[6:7], s[0:1], 0x10
	s_load_b64 s[8:9], s[0:1], 0x20
	v_not_b32_e32 v6, v1
	v_dual_mov_b32 v1, 0 :: v_dual_bitop2_b32 v7, 62, v0 bitop3:0x40
	s_wait_xcnt 0x0
	s_mov_b32 s1, 0
	s_delay_alu instid0(VALU_DEP_2) | instskip(NEXT) | instid1(VALU_DEP_1)
	v_lshrrev_b32_e64 v0, v6, -1
	v_lshlrev_b64_e32 v[6:7], v7, v[0:1]
	v_lshl_or_b32 v7, v9, 2, 4
	s_wait_kmcnt 0x0
	s_sub_co_i32 s10, s11, s10
	s_wait_loadcnt 0x0
	v_subrev_nc_u32_e32 v8, s11, v5
	s_branch .LBB16_6
.LBB16_5:                               ;   in Loop: Header=BB16_6 Depth=1
	s_wait_xcnt 0x0
	s_or_b32 exec_lo, exec_lo, s0
	ds_bpermute_b32 v0, v7, v0
	v_add_nc_u32_e32 v4, 2, v4
	s_delay_alu instid0(VALU_DEP_1)
	v_cmp_ge_i32_e32 vcc_lo, v4, v12
	s_or_b32 s1, vcc_lo, s1
	s_wait_dscnt 0x0
	v_add_nc_u32_e32 v8, v0, v8
	s_and_not1_b32 exec_lo, exec_lo, s1
	s_cbranch_execz .LBB16_8
.LBB16_6:                               ; =>This Inner Loop Header: Depth=1
	global_load_b64 v[10:11], v4, s[6:7] scale_offset
	v_ashrrev_i32_e32 v5, 31, v4
	s_wait_loadcnt 0x0
	v_cmp_gt_f64_e32 vcc_lo, 0, v[10:11]
	v_xor_b32_e32 v0, 0x80000000, v11
	s_delay_alu instid0(VALU_DEP_1) | instskip(SKIP_1) | instid1(VALU_DEP_1)
	v_dual_mov_b32 v14, v10 :: v_dual_cndmask_b32 v15, v11, v0
	s_wait_dscnt 0x0
	v_cmp_gt_f64_e32 vcc_lo, v[14:15], v[2:3]
	v_cmp_lt_f64_e64 s0, 0x38100000, v[14:15]
	s_and_b32 s11, vcc_lo, s0
	s_delay_alu instid0(SALU_CYCLE_1) | instskip(NEXT) | instid1(VALU_DEP_1)
	v_cndmask_b32_e64 v0, 0, 1, s11
	v_cmp_ne_u32_e32 vcc_lo, 0, v0
	v_and_b32_e32 v0, vcc_lo, v6
	s_delay_alu instid0(VALU_DEP_1)
	v_bcnt_u32_b32 v0, v0, 0
	s_wait_xcnt 0x0
	s_and_saveexec_b32 s0, s11
	s_cbranch_execz .LBB16_5
; %bb.7:                                ;   in Loop: Header=BB16_6 Depth=1
	v_lshl_add_u64 v[14:15], v[4:5], 2, s[8:9]
	global_load_b32 v5, v[14:15], off
	s_wait_loadcnt 0x0
	v_dual_ashrrev_i32 v9, 31, v8 :: v_dual_add_nc_u32 v5, s10, v5
	s_wait_xcnt 0x0
	s_delay_alu instid0(VALU_DEP_1) | instskip(NEXT) | instid1(VALU_DEP_1)
	v_add_nc_u64_e32 v[14:15], v[8:9], v[0:1]
	v_lshl_add_u64 v[16:17], v[14:15], 3, s[4:5]
	v_lshl_add_u64 v[14:15], v[14:15], 2, s[2:3]
	global_store_b64 v[16:17], v[10:11], off offset:-8
	global_store_b32 v[14:15], v5, off offset:-4
	s_branch .LBB16_5
.LBB16_8:
	s_endpgm
	.section	.rodata,"a",@progbits
	.p2align	6, 0x0
	.amdhsa_kernel _ZN9rocsparseL23csr2csr_compress_kernelILi1024ELi512ELi2ELi64EdEEvii21rocsparse_index_base_PKT3_PKiS6_iS1_PS2_S6_PiNS_24const_host_device_scalarIS2_EEb
		.amdhsa_group_segment_fixed_size 0
		.amdhsa_private_segment_fixed_size 0
		.amdhsa_kernarg_size 84
		.amdhsa_user_sgpr_count 2
		.amdhsa_user_sgpr_dispatch_ptr 0
		.amdhsa_user_sgpr_queue_ptr 0
		.amdhsa_user_sgpr_kernarg_segment_ptr 1
		.amdhsa_user_sgpr_dispatch_id 0
		.amdhsa_user_sgpr_kernarg_preload_length 0
		.amdhsa_user_sgpr_kernarg_preload_offset 0
		.amdhsa_user_sgpr_private_segment_size 0
		.amdhsa_wavefront_size32 1
		.amdhsa_uses_dynamic_stack 0
		.amdhsa_enable_private_segment 0
		.amdhsa_system_sgpr_workgroup_id_x 1
		.amdhsa_system_sgpr_workgroup_id_y 0
		.amdhsa_system_sgpr_workgroup_id_z 0
		.amdhsa_system_sgpr_workgroup_info 0
		.amdhsa_system_vgpr_workitem_id 0
		.amdhsa_next_free_vgpr 18
		.amdhsa_next_free_sgpr 12
		.amdhsa_named_barrier_count 0
		.amdhsa_reserve_vcc 1
		.amdhsa_float_round_mode_32 0
		.amdhsa_float_round_mode_16_64 0
		.amdhsa_float_denorm_mode_32 3
		.amdhsa_float_denorm_mode_16_64 3
		.amdhsa_fp16_overflow 0
		.amdhsa_memory_ordered 1
		.amdhsa_forward_progress 1
		.amdhsa_inst_pref_size 5
		.amdhsa_round_robin_scheduling 0
		.amdhsa_exception_fp_ieee_invalid_op 0
		.amdhsa_exception_fp_denorm_src 0
		.amdhsa_exception_fp_ieee_div_zero 0
		.amdhsa_exception_fp_ieee_overflow 0
		.amdhsa_exception_fp_ieee_underflow 0
		.amdhsa_exception_fp_ieee_inexact 0
		.amdhsa_exception_int_div_zero 0
	.end_amdhsa_kernel
	.section	.text._ZN9rocsparseL23csr2csr_compress_kernelILi1024ELi512ELi2ELi64EdEEvii21rocsparse_index_base_PKT3_PKiS6_iS1_PS2_S6_PiNS_24const_host_device_scalarIS2_EEb,"axG",@progbits,_ZN9rocsparseL23csr2csr_compress_kernelILi1024ELi512ELi2ELi64EdEEvii21rocsparse_index_base_PKT3_PKiS6_iS1_PS2_S6_PiNS_24const_host_device_scalarIS2_EEb,comdat
.Lfunc_end16:
	.size	_ZN9rocsparseL23csr2csr_compress_kernelILi1024ELi512ELi2ELi64EdEEvii21rocsparse_index_base_PKT3_PKiS6_iS1_PS2_S6_PiNS_24const_host_device_scalarIS2_EEb, .Lfunc_end16-_ZN9rocsparseL23csr2csr_compress_kernelILi1024ELi512ELi2ELi64EdEEvii21rocsparse_index_base_PKT3_PKiS6_iS1_PS2_S6_PiNS_24const_host_device_scalarIS2_EEb
                                        ; -- End function
	.set _ZN9rocsparseL23csr2csr_compress_kernelILi1024ELi512ELi2ELi64EdEEvii21rocsparse_index_base_PKT3_PKiS6_iS1_PS2_S6_PiNS_24const_host_device_scalarIS2_EEb.num_vgpr, 18
	.set _ZN9rocsparseL23csr2csr_compress_kernelILi1024ELi512ELi2ELi64EdEEvii21rocsparse_index_base_PKT3_PKiS6_iS1_PS2_S6_PiNS_24const_host_device_scalarIS2_EEb.num_agpr, 0
	.set _ZN9rocsparseL23csr2csr_compress_kernelILi1024ELi512ELi2ELi64EdEEvii21rocsparse_index_base_PKT3_PKiS6_iS1_PS2_S6_PiNS_24const_host_device_scalarIS2_EEb.numbered_sgpr, 12
	.set _ZN9rocsparseL23csr2csr_compress_kernelILi1024ELi512ELi2ELi64EdEEvii21rocsparse_index_base_PKT3_PKiS6_iS1_PS2_S6_PiNS_24const_host_device_scalarIS2_EEb.num_named_barrier, 0
	.set _ZN9rocsparseL23csr2csr_compress_kernelILi1024ELi512ELi2ELi64EdEEvii21rocsparse_index_base_PKT3_PKiS6_iS1_PS2_S6_PiNS_24const_host_device_scalarIS2_EEb.private_seg_size, 0
	.set _ZN9rocsparseL23csr2csr_compress_kernelILi1024ELi512ELi2ELi64EdEEvii21rocsparse_index_base_PKT3_PKiS6_iS1_PS2_S6_PiNS_24const_host_device_scalarIS2_EEb.uses_vcc, 1
	.set _ZN9rocsparseL23csr2csr_compress_kernelILi1024ELi512ELi2ELi64EdEEvii21rocsparse_index_base_PKT3_PKiS6_iS1_PS2_S6_PiNS_24const_host_device_scalarIS2_EEb.uses_flat_scratch, 0
	.set _ZN9rocsparseL23csr2csr_compress_kernelILi1024ELi512ELi2ELi64EdEEvii21rocsparse_index_base_PKT3_PKiS6_iS1_PS2_S6_PiNS_24const_host_device_scalarIS2_EEb.has_dyn_sized_stack, 0
	.set _ZN9rocsparseL23csr2csr_compress_kernelILi1024ELi512ELi2ELi64EdEEvii21rocsparse_index_base_PKT3_PKiS6_iS1_PS2_S6_PiNS_24const_host_device_scalarIS2_EEb.has_recursion, 0
	.set _ZN9rocsparseL23csr2csr_compress_kernelILi1024ELi512ELi2ELi64EdEEvii21rocsparse_index_base_PKT3_PKiS6_iS1_PS2_S6_PiNS_24const_host_device_scalarIS2_EEb.has_indirect_call, 0
	.section	.AMDGPU.csdata,"",@progbits
; Kernel info:
; codeLenInByte = 628
; TotalNumSgprs: 14
; NumVgprs: 18
; ScratchSize: 0
; MemoryBound: 0
; FloatMode: 240
; IeeeMode: 1
; LDSByteSize: 0 bytes/workgroup (compile time only)
; SGPRBlocks: 0
; VGPRBlocks: 1
; NumSGPRsForWavesPerEU: 14
; NumVGPRsForWavesPerEU: 18
; NamedBarCnt: 0
; Occupancy: 16
; WaveLimiterHint : 0
; COMPUTE_PGM_RSRC2:SCRATCH_EN: 0
; COMPUTE_PGM_RSRC2:USER_SGPR: 2
; COMPUTE_PGM_RSRC2:TRAP_HANDLER: 0
; COMPUTE_PGM_RSRC2:TGID_X_EN: 1
; COMPUTE_PGM_RSRC2:TGID_Y_EN: 0
; COMPUTE_PGM_RSRC2:TGID_Z_EN: 0
; COMPUTE_PGM_RSRC2:TIDIG_COMP_CNT: 0
	.section	.text._ZN9rocsparseL23csr2csr_compress_kernelILi1024ELi256ELi4ELi64EdEEvii21rocsparse_index_base_PKT3_PKiS6_iS1_PS2_S6_PiNS_24const_host_device_scalarIS2_EEb,"axG",@progbits,_ZN9rocsparseL23csr2csr_compress_kernelILi1024ELi256ELi4ELi64EdEEvii21rocsparse_index_base_PKT3_PKiS6_iS1_PS2_S6_PiNS_24const_host_device_scalarIS2_EEb,comdat
	.globl	_ZN9rocsparseL23csr2csr_compress_kernelILi1024ELi256ELi4ELi64EdEEvii21rocsparse_index_base_PKT3_PKiS6_iS1_PS2_S6_PiNS_24const_host_device_scalarIS2_EEb ; -- Begin function _ZN9rocsparseL23csr2csr_compress_kernelILi1024ELi256ELi4ELi64EdEEvii21rocsparse_index_base_PKT3_PKiS6_iS1_PS2_S6_PiNS_24const_host_device_scalarIS2_EEb
	.p2align	8
	.type	_ZN9rocsparseL23csr2csr_compress_kernelILi1024ELi256ELi4ELi64EdEEvii21rocsparse_index_base_PKT3_PKiS6_iS1_PS2_S6_PiNS_24const_host_device_scalarIS2_EEb,@function
_ZN9rocsparseL23csr2csr_compress_kernelILi1024ELi256ELi4ELi64EdEEvii21rocsparse_index_base_PKT3_PKiS6_iS1_PS2_S6_PiNS_24const_host_device_scalarIS2_EEb: ; @_ZN9rocsparseL23csr2csr_compress_kernelILi1024ELi256ELi4ELi64EdEEvii21rocsparse_index_base_PKT3_PKiS6_iS1_PS2_S6_PiNS_24const_host_device_scalarIS2_EEb
; %bb.0:
	s_load_b96 s[4:6], s[0:1], 0x48
	s_wait_kmcnt 0x0
	v_mov_b64_e32 v[2:3], s[4:5]
	s_bitcmp1_b32 s6, 0
	s_cselect_b32 s2, -1, 0
	s_delay_alu instid0(SALU_CYCLE_1)
	s_and_b32 vcc_lo, exec_lo, s2
	s_cbranch_vccnz .LBB17_2
; %bb.1:
	v_mov_b32_e32 v1, 0
	flat_load_b64 v[2:3], v1, s[4:5]
.LBB17_2:
	s_load_b32 s2, s[0:1], 0x0
	s_bfe_u32 s3, ttmp6, 0x4000c
	s_and_b32 s4, ttmp6, 15
	s_add_co_i32 s3, s3, 1
	s_getreg_b32 s5, hwreg(HW_REG_IB_STS2, 6, 4)
	s_mul_i32 s3, ttmp9, s3
	v_lshrrev_b32_e32 v1, 2, v0
	s_add_co_i32 s4, s4, s3
	s_cmp_eq_u32 s5, 0
	s_cselect_b32 s3, ttmp9, s4
	s_delay_alu instid0(VALU_DEP_1) | instid1(SALU_CYCLE_1)
	v_lshl_or_b32 v6, s3, 8, v1
	s_wait_kmcnt 0x0
	s_delay_alu instid0(VALU_DEP_1)
	v_cmp_gt_i32_e32 vcc_lo, s2, v6
	s_and_saveexec_b32 s2, vcc_lo
	s_cbranch_execz .LBB17_8
; %bb.3:
	s_clause 0x1
	s_load_b64 s[2:3], s[0:1], 0x18
	s_load_b32 s10, s[0:1], 0x8
	v_dual_ashrrev_i32 v7, 31, v6 :: v_dual_bitop2_b32 v1, 3, v0 bitop3:0x40
	s_wait_kmcnt 0x0
	s_delay_alu instid0(VALU_DEP_1) | instskip(NEXT) | instid1(VALU_DEP_2)
	v_lshl_add_u64 v[4:5], v[6:7], 2, s[2:3]
	v_subrev_nc_u32_e32 v8, s10, v1
	global_load_b64 v[4:5], v[4:5], off
	s_wait_loadcnt 0x0
	v_subrev_nc_u32_e32 v12, s10, v5
	v_add_nc_u32_e32 v4, v4, v8
	s_delay_alu instid0(VALU_DEP_1)
	v_cmp_lt_i32_e32 vcc_lo, v4, v12
	s_and_b32 exec_lo, exec_lo, vcc_lo
	s_cbranch_execz .LBB17_8
; %bb.4:
	s_clause 0x1
	s_load_b128 s[4:7], s[0:1], 0x30
	s_load_b64 s[2:3], s[0:1], 0x40
	v_mbcnt_lo_u32_b32 v9, -1, 0
	s_wait_kmcnt 0x0
	v_lshl_add_u64 v[6:7], v[6:7], 2, s[6:7]
	global_load_b32 v5, v[6:7], off
	s_clause 0x2
	s_load_b32 s11, s[0:1], 0x2c
	s_load_b64 s[6:7], s[0:1], 0x10
	s_load_b64 s[8:9], s[0:1], 0x20
	v_not_b32_e32 v6, v1
	v_dual_mov_b32 v1, 0 :: v_dual_bitop2_b32 v7, 60, v0 bitop3:0x40
	s_wait_xcnt 0x0
	s_mov_b32 s1, 0
	s_delay_alu instid0(VALU_DEP_2) | instskip(NEXT) | instid1(VALU_DEP_1)
	v_lshrrev_b32_e64 v0, v6, -1
	v_lshlrev_b64_e32 v[6:7], v7, v[0:1]
	v_lshl_or_b32 v7, v9, 2, 12
	s_wait_kmcnt 0x0
	s_sub_co_i32 s10, s11, s10
	s_wait_loadcnt 0x0
	v_subrev_nc_u32_e32 v8, s11, v5
	s_branch .LBB17_6
.LBB17_5:                               ;   in Loop: Header=BB17_6 Depth=1
	s_wait_xcnt 0x0
	s_or_b32 exec_lo, exec_lo, s0
	ds_bpermute_b32 v0, v7, v0
	v_add_nc_u32_e32 v4, 4, v4
	s_delay_alu instid0(VALU_DEP_1)
	v_cmp_ge_i32_e32 vcc_lo, v4, v12
	s_or_b32 s1, vcc_lo, s1
	s_wait_dscnt 0x0
	v_add_nc_u32_e32 v8, v0, v8
	s_and_not1_b32 exec_lo, exec_lo, s1
	s_cbranch_execz .LBB17_8
.LBB17_6:                               ; =>This Inner Loop Header: Depth=1
	global_load_b64 v[10:11], v4, s[6:7] scale_offset
	v_ashrrev_i32_e32 v5, 31, v4
	s_wait_loadcnt 0x0
	v_cmp_gt_f64_e32 vcc_lo, 0, v[10:11]
	v_xor_b32_e32 v0, 0x80000000, v11
	s_delay_alu instid0(VALU_DEP_1) | instskip(SKIP_1) | instid1(VALU_DEP_1)
	v_dual_mov_b32 v14, v10 :: v_dual_cndmask_b32 v15, v11, v0
	s_wait_dscnt 0x0
	v_cmp_gt_f64_e32 vcc_lo, v[14:15], v[2:3]
	v_cmp_lt_f64_e64 s0, 0x38100000, v[14:15]
	s_and_b32 s11, vcc_lo, s0
	s_delay_alu instid0(SALU_CYCLE_1) | instskip(NEXT) | instid1(VALU_DEP_1)
	v_cndmask_b32_e64 v0, 0, 1, s11
	v_cmp_ne_u32_e32 vcc_lo, 0, v0
	v_and_b32_e32 v0, vcc_lo, v6
	s_delay_alu instid0(VALU_DEP_1)
	v_bcnt_u32_b32 v0, v0, 0
	s_wait_xcnt 0x0
	s_and_saveexec_b32 s0, s11
	s_cbranch_execz .LBB17_5
; %bb.7:                                ;   in Loop: Header=BB17_6 Depth=1
	v_lshl_add_u64 v[14:15], v[4:5], 2, s[8:9]
	global_load_b32 v5, v[14:15], off
	s_wait_loadcnt 0x0
	v_dual_ashrrev_i32 v9, 31, v8 :: v_dual_add_nc_u32 v5, s10, v5
	s_wait_xcnt 0x0
	s_delay_alu instid0(VALU_DEP_1) | instskip(NEXT) | instid1(VALU_DEP_1)
	v_add_nc_u64_e32 v[14:15], v[8:9], v[0:1]
	v_lshl_add_u64 v[16:17], v[14:15], 3, s[4:5]
	v_lshl_add_u64 v[14:15], v[14:15], 2, s[2:3]
	global_store_b64 v[16:17], v[10:11], off offset:-8
	global_store_b32 v[14:15], v5, off offset:-4
	s_branch .LBB17_5
.LBB17_8:
	s_endpgm
	.section	.rodata,"a",@progbits
	.p2align	6, 0x0
	.amdhsa_kernel _ZN9rocsparseL23csr2csr_compress_kernelILi1024ELi256ELi4ELi64EdEEvii21rocsparse_index_base_PKT3_PKiS6_iS1_PS2_S6_PiNS_24const_host_device_scalarIS2_EEb
		.amdhsa_group_segment_fixed_size 0
		.amdhsa_private_segment_fixed_size 0
		.amdhsa_kernarg_size 84
		.amdhsa_user_sgpr_count 2
		.amdhsa_user_sgpr_dispatch_ptr 0
		.amdhsa_user_sgpr_queue_ptr 0
		.amdhsa_user_sgpr_kernarg_segment_ptr 1
		.amdhsa_user_sgpr_dispatch_id 0
		.amdhsa_user_sgpr_kernarg_preload_length 0
		.amdhsa_user_sgpr_kernarg_preload_offset 0
		.amdhsa_user_sgpr_private_segment_size 0
		.amdhsa_wavefront_size32 1
		.amdhsa_uses_dynamic_stack 0
		.amdhsa_enable_private_segment 0
		.amdhsa_system_sgpr_workgroup_id_x 1
		.amdhsa_system_sgpr_workgroup_id_y 0
		.amdhsa_system_sgpr_workgroup_id_z 0
		.amdhsa_system_sgpr_workgroup_info 0
		.amdhsa_system_vgpr_workitem_id 0
		.amdhsa_next_free_vgpr 18
		.amdhsa_next_free_sgpr 12
		.amdhsa_named_barrier_count 0
		.amdhsa_reserve_vcc 1
		.amdhsa_float_round_mode_32 0
		.amdhsa_float_round_mode_16_64 0
		.amdhsa_float_denorm_mode_32 3
		.amdhsa_float_denorm_mode_16_64 3
		.amdhsa_fp16_overflow 0
		.amdhsa_memory_ordered 1
		.amdhsa_forward_progress 1
		.amdhsa_inst_pref_size 5
		.amdhsa_round_robin_scheduling 0
		.amdhsa_exception_fp_ieee_invalid_op 0
		.amdhsa_exception_fp_denorm_src 0
		.amdhsa_exception_fp_ieee_div_zero 0
		.amdhsa_exception_fp_ieee_overflow 0
		.amdhsa_exception_fp_ieee_underflow 0
		.amdhsa_exception_fp_ieee_inexact 0
		.amdhsa_exception_int_div_zero 0
	.end_amdhsa_kernel
	.section	.text._ZN9rocsparseL23csr2csr_compress_kernelILi1024ELi256ELi4ELi64EdEEvii21rocsparse_index_base_PKT3_PKiS6_iS1_PS2_S6_PiNS_24const_host_device_scalarIS2_EEb,"axG",@progbits,_ZN9rocsparseL23csr2csr_compress_kernelILi1024ELi256ELi4ELi64EdEEvii21rocsparse_index_base_PKT3_PKiS6_iS1_PS2_S6_PiNS_24const_host_device_scalarIS2_EEb,comdat
.Lfunc_end17:
	.size	_ZN9rocsparseL23csr2csr_compress_kernelILi1024ELi256ELi4ELi64EdEEvii21rocsparse_index_base_PKT3_PKiS6_iS1_PS2_S6_PiNS_24const_host_device_scalarIS2_EEb, .Lfunc_end17-_ZN9rocsparseL23csr2csr_compress_kernelILi1024ELi256ELi4ELi64EdEEvii21rocsparse_index_base_PKT3_PKiS6_iS1_PS2_S6_PiNS_24const_host_device_scalarIS2_EEb
                                        ; -- End function
	.set _ZN9rocsparseL23csr2csr_compress_kernelILi1024ELi256ELi4ELi64EdEEvii21rocsparse_index_base_PKT3_PKiS6_iS1_PS2_S6_PiNS_24const_host_device_scalarIS2_EEb.num_vgpr, 18
	.set _ZN9rocsparseL23csr2csr_compress_kernelILi1024ELi256ELi4ELi64EdEEvii21rocsparse_index_base_PKT3_PKiS6_iS1_PS2_S6_PiNS_24const_host_device_scalarIS2_EEb.num_agpr, 0
	.set _ZN9rocsparseL23csr2csr_compress_kernelILi1024ELi256ELi4ELi64EdEEvii21rocsparse_index_base_PKT3_PKiS6_iS1_PS2_S6_PiNS_24const_host_device_scalarIS2_EEb.numbered_sgpr, 12
	.set _ZN9rocsparseL23csr2csr_compress_kernelILi1024ELi256ELi4ELi64EdEEvii21rocsparse_index_base_PKT3_PKiS6_iS1_PS2_S6_PiNS_24const_host_device_scalarIS2_EEb.num_named_barrier, 0
	.set _ZN9rocsparseL23csr2csr_compress_kernelILi1024ELi256ELi4ELi64EdEEvii21rocsparse_index_base_PKT3_PKiS6_iS1_PS2_S6_PiNS_24const_host_device_scalarIS2_EEb.private_seg_size, 0
	.set _ZN9rocsparseL23csr2csr_compress_kernelILi1024ELi256ELi4ELi64EdEEvii21rocsparse_index_base_PKT3_PKiS6_iS1_PS2_S6_PiNS_24const_host_device_scalarIS2_EEb.uses_vcc, 1
	.set _ZN9rocsparseL23csr2csr_compress_kernelILi1024ELi256ELi4ELi64EdEEvii21rocsparse_index_base_PKT3_PKiS6_iS1_PS2_S6_PiNS_24const_host_device_scalarIS2_EEb.uses_flat_scratch, 0
	.set _ZN9rocsparseL23csr2csr_compress_kernelILi1024ELi256ELi4ELi64EdEEvii21rocsparse_index_base_PKT3_PKiS6_iS1_PS2_S6_PiNS_24const_host_device_scalarIS2_EEb.has_dyn_sized_stack, 0
	.set _ZN9rocsparseL23csr2csr_compress_kernelILi1024ELi256ELi4ELi64EdEEvii21rocsparse_index_base_PKT3_PKiS6_iS1_PS2_S6_PiNS_24const_host_device_scalarIS2_EEb.has_recursion, 0
	.set _ZN9rocsparseL23csr2csr_compress_kernelILi1024ELi256ELi4ELi64EdEEvii21rocsparse_index_base_PKT3_PKiS6_iS1_PS2_S6_PiNS_24const_host_device_scalarIS2_EEb.has_indirect_call, 0
	.section	.AMDGPU.csdata,"",@progbits
; Kernel info:
; codeLenInByte = 628
; TotalNumSgprs: 14
; NumVgprs: 18
; ScratchSize: 0
; MemoryBound: 0
; FloatMode: 240
; IeeeMode: 1
; LDSByteSize: 0 bytes/workgroup (compile time only)
; SGPRBlocks: 0
; VGPRBlocks: 1
; NumSGPRsForWavesPerEU: 14
; NumVGPRsForWavesPerEU: 18
; NamedBarCnt: 0
; Occupancy: 16
; WaveLimiterHint : 0
; COMPUTE_PGM_RSRC2:SCRATCH_EN: 0
; COMPUTE_PGM_RSRC2:USER_SGPR: 2
; COMPUTE_PGM_RSRC2:TRAP_HANDLER: 0
; COMPUTE_PGM_RSRC2:TGID_X_EN: 1
; COMPUTE_PGM_RSRC2:TGID_Y_EN: 0
; COMPUTE_PGM_RSRC2:TGID_Z_EN: 0
; COMPUTE_PGM_RSRC2:TIDIG_COMP_CNT: 0
	.section	.text._ZN9rocsparseL23csr2csr_compress_kernelILi1024ELi128ELi8ELi64EdEEvii21rocsparse_index_base_PKT3_PKiS6_iS1_PS2_S6_PiNS_24const_host_device_scalarIS2_EEb,"axG",@progbits,_ZN9rocsparseL23csr2csr_compress_kernelILi1024ELi128ELi8ELi64EdEEvii21rocsparse_index_base_PKT3_PKiS6_iS1_PS2_S6_PiNS_24const_host_device_scalarIS2_EEb,comdat
	.globl	_ZN9rocsparseL23csr2csr_compress_kernelILi1024ELi128ELi8ELi64EdEEvii21rocsparse_index_base_PKT3_PKiS6_iS1_PS2_S6_PiNS_24const_host_device_scalarIS2_EEb ; -- Begin function _ZN9rocsparseL23csr2csr_compress_kernelILi1024ELi128ELi8ELi64EdEEvii21rocsparse_index_base_PKT3_PKiS6_iS1_PS2_S6_PiNS_24const_host_device_scalarIS2_EEb
	.p2align	8
	.type	_ZN9rocsparseL23csr2csr_compress_kernelILi1024ELi128ELi8ELi64EdEEvii21rocsparse_index_base_PKT3_PKiS6_iS1_PS2_S6_PiNS_24const_host_device_scalarIS2_EEb,@function
_ZN9rocsparseL23csr2csr_compress_kernelILi1024ELi128ELi8ELi64EdEEvii21rocsparse_index_base_PKT3_PKiS6_iS1_PS2_S6_PiNS_24const_host_device_scalarIS2_EEb: ; @_ZN9rocsparseL23csr2csr_compress_kernelILi1024ELi128ELi8ELi64EdEEvii21rocsparse_index_base_PKT3_PKiS6_iS1_PS2_S6_PiNS_24const_host_device_scalarIS2_EEb
; %bb.0:
	s_load_b96 s[4:6], s[0:1], 0x48
	s_wait_kmcnt 0x0
	v_mov_b64_e32 v[2:3], s[4:5]
	s_bitcmp1_b32 s6, 0
	s_cselect_b32 s2, -1, 0
	s_delay_alu instid0(SALU_CYCLE_1)
	s_and_b32 vcc_lo, exec_lo, s2
	s_cbranch_vccnz .LBB18_2
; %bb.1:
	v_mov_b32_e32 v1, 0
	flat_load_b64 v[2:3], v1, s[4:5]
.LBB18_2:
	s_load_b32 s2, s[0:1], 0x0
	s_bfe_u32 s3, ttmp6, 0x4000c
	s_and_b32 s4, ttmp6, 15
	s_add_co_i32 s3, s3, 1
	s_getreg_b32 s5, hwreg(HW_REG_IB_STS2, 6, 4)
	s_mul_i32 s3, ttmp9, s3
	v_lshrrev_b32_e32 v1, 3, v0
	s_add_co_i32 s4, s4, s3
	s_cmp_eq_u32 s5, 0
	s_cselect_b32 s3, ttmp9, s4
	s_delay_alu instid0(VALU_DEP_1) | instid1(SALU_CYCLE_1)
	v_lshl_or_b32 v6, s3, 7, v1
	s_wait_kmcnt 0x0
	s_delay_alu instid0(VALU_DEP_1)
	v_cmp_gt_i32_e32 vcc_lo, s2, v6
	s_and_saveexec_b32 s2, vcc_lo
	s_cbranch_execz .LBB18_8
; %bb.3:
	s_clause 0x1
	s_load_b64 s[2:3], s[0:1], 0x18
	s_load_b32 s10, s[0:1], 0x8
	v_dual_ashrrev_i32 v7, 31, v6 :: v_dual_bitop2_b32 v1, 7, v0 bitop3:0x40
	s_wait_kmcnt 0x0
	s_delay_alu instid0(VALU_DEP_1) | instskip(NEXT) | instid1(VALU_DEP_2)
	v_lshl_add_u64 v[4:5], v[6:7], 2, s[2:3]
	v_subrev_nc_u32_e32 v8, s10, v1
	global_load_b64 v[4:5], v[4:5], off
	s_wait_loadcnt 0x0
	v_subrev_nc_u32_e32 v12, s10, v5
	v_add_nc_u32_e32 v4, v4, v8
	s_delay_alu instid0(VALU_DEP_1)
	v_cmp_lt_i32_e32 vcc_lo, v4, v12
	s_and_b32 exec_lo, exec_lo, vcc_lo
	s_cbranch_execz .LBB18_8
; %bb.4:
	s_clause 0x1
	s_load_b128 s[4:7], s[0:1], 0x30
	s_load_b64 s[2:3], s[0:1], 0x40
	v_mbcnt_lo_u32_b32 v9, -1, 0
	s_wait_kmcnt 0x0
	v_lshl_add_u64 v[6:7], v[6:7], 2, s[6:7]
	global_load_b32 v5, v[6:7], off
	s_clause 0x2
	s_load_b32 s11, s[0:1], 0x2c
	s_load_b64 s[6:7], s[0:1], 0x10
	s_load_b64 s[8:9], s[0:1], 0x20
	v_not_b32_e32 v6, v1
	v_dual_mov_b32 v1, 0 :: v_dual_bitop2_b32 v7, 56, v0 bitop3:0x40
	s_wait_xcnt 0x0
	s_mov_b32 s1, 0
	s_delay_alu instid0(VALU_DEP_2) | instskip(NEXT) | instid1(VALU_DEP_1)
	v_lshrrev_b32_e64 v0, v6, -1
	v_lshlrev_b64_e32 v[6:7], v7, v[0:1]
	v_lshl_or_b32 v7, v9, 2, 28
	s_wait_kmcnt 0x0
	s_sub_co_i32 s10, s11, s10
	s_wait_loadcnt 0x0
	v_subrev_nc_u32_e32 v8, s11, v5
	s_branch .LBB18_6
.LBB18_5:                               ;   in Loop: Header=BB18_6 Depth=1
	s_wait_xcnt 0x0
	s_or_b32 exec_lo, exec_lo, s0
	ds_bpermute_b32 v0, v7, v0
	v_add_nc_u32_e32 v4, 8, v4
	s_delay_alu instid0(VALU_DEP_1)
	v_cmp_ge_i32_e32 vcc_lo, v4, v12
	s_or_b32 s1, vcc_lo, s1
	s_wait_dscnt 0x0
	v_add_nc_u32_e32 v8, v0, v8
	s_and_not1_b32 exec_lo, exec_lo, s1
	s_cbranch_execz .LBB18_8
.LBB18_6:                               ; =>This Inner Loop Header: Depth=1
	global_load_b64 v[10:11], v4, s[6:7] scale_offset
	v_ashrrev_i32_e32 v5, 31, v4
	s_wait_loadcnt 0x0
	v_cmp_gt_f64_e32 vcc_lo, 0, v[10:11]
	v_xor_b32_e32 v0, 0x80000000, v11
	s_delay_alu instid0(VALU_DEP_1) | instskip(SKIP_1) | instid1(VALU_DEP_1)
	v_dual_mov_b32 v14, v10 :: v_dual_cndmask_b32 v15, v11, v0
	s_wait_dscnt 0x0
	v_cmp_gt_f64_e32 vcc_lo, v[14:15], v[2:3]
	v_cmp_lt_f64_e64 s0, 0x38100000, v[14:15]
	s_and_b32 s11, vcc_lo, s0
	s_delay_alu instid0(SALU_CYCLE_1) | instskip(NEXT) | instid1(VALU_DEP_1)
	v_cndmask_b32_e64 v0, 0, 1, s11
	v_cmp_ne_u32_e32 vcc_lo, 0, v0
	v_and_b32_e32 v0, vcc_lo, v6
	s_delay_alu instid0(VALU_DEP_1)
	v_bcnt_u32_b32 v0, v0, 0
	s_wait_xcnt 0x0
	s_and_saveexec_b32 s0, s11
	s_cbranch_execz .LBB18_5
; %bb.7:                                ;   in Loop: Header=BB18_6 Depth=1
	v_lshl_add_u64 v[14:15], v[4:5], 2, s[8:9]
	global_load_b32 v5, v[14:15], off
	s_wait_loadcnt 0x0
	v_dual_ashrrev_i32 v9, 31, v8 :: v_dual_add_nc_u32 v5, s10, v5
	s_wait_xcnt 0x0
	s_delay_alu instid0(VALU_DEP_1) | instskip(NEXT) | instid1(VALU_DEP_1)
	v_add_nc_u64_e32 v[14:15], v[8:9], v[0:1]
	v_lshl_add_u64 v[16:17], v[14:15], 3, s[4:5]
	v_lshl_add_u64 v[14:15], v[14:15], 2, s[2:3]
	global_store_b64 v[16:17], v[10:11], off offset:-8
	global_store_b32 v[14:15], v5, off offset:-4
	s_branch .LBB18_5
.LBB18_8:
	s_endpgm
	.section	.rodata,"a",@progbits
	.p2align	6, 0x0
	.amdhsa_kernel _ZN9rocsparseL23csr2csr_compress_kernelILi1024ELi128ELi8ELi64EdEEvii21rocsparse_index_base_PKT3_PKiS6_iS1_PS2_S6_PiNS_24const_host_device_scalarIS2_EEb
		.amdhsa_group_segment_fixed_size 0
		.amdhsa_private_segment_fixed_size 0
		.amdhsa_kernarg_size 84
		.amdhsa_user_sgpr_count 2
		.amdhsa_user_sgpr_dispatch_ptr 0
		.amdhsa_user_sgpr_queue_ptr 0
		.amdhsa_user_sgpr_kernarg_segment_ptr 1
		.amdhsa_user_sgpr_dispatch_id 0
		.amdhsa_user_sgpr_kernarg_preload_length 0
		.amdhsa_user_sgpr_kernarg_preload_offset 0
		.amdhsa_user_sgpr_private_segment_size 0
		.amdhsa_wavefront_size32 1
		.amdhsa_uses_dynamic_stack 0
		.amdhsa_enable_private_segment 0
		.amdhsa_system_sgpr_workgroup_id_x 1
		.amdhsa_system_sgpr_workgroup_id_y 0
		.amdhsa_system_sgpr_workgroup_id_z 0
		.amdhsa_system_sgpr_workgroup_info 0
		.amdhsa_system_vgpr_workitem_id 0
		.amdhsa_next_free_vgpr 18
		.amdhsa_next_free_sgpr 12
		.amdhsa_named_barrier_count 0
		.amdhsa_reserve_vcc 1
		.amdhsa_float_round_mode_32 0
		.amdhsa_float_round_mode_16_64 0
		.amdhsa_float_denorm_mode_32 3
		.amdhsa_float_denorm_mode_16_64 3
		.amdhsa_fp16_overflow 0
		.amdhsa_memory_ordered 1
		.amdhsa_forward_progress 1
		.amdhsa_inst_pref_size 5
		.amdhsa_round_robin_scheduling 0
		.amdhsa_exception_fp_ieee_invalid_op 0
		.amdhsa_exception_fp_denorm_src 0
		.amdhsa_exception_fp_ieee_div_zero 0
		.amdhsa_exception_fp_ieee_overflow 0
		.amdhsa_exception_fp_ieee_underflow 0
		.amdhsa_exception_fp_ieee_inexact 0
		.amdhsa_exception_int_div_zero 0
	.end_amdhsa_kernel
	.section	.text._ZN9rocsparseL23csr2csr_compress_kernelILi1024ELi128ELi8ELi64EdEEvii21rocsparse_index_base_PKT3_PKiS6_iS1_PS2_S6_PiNS_24const_host_device_scalarIS2_EEb,"axG",@progbits,_ZN9rocsparseL23csr2csr_compress_kernelILi1024ELi128ELi8ELi64EdEEvii21rocsparse_index_base_PKT3_PKiS6_iS1_PS2_S6_PiNS_24const_host_device_scalarIS2_EEb,comdat
.Lfunc_end18:
	.size	_ZN9rocsparseL23csr2csr_compress_kernelILi1024ELi128ELi8ELi64EdEEvii21rocsparse_index_base_PKT3_PKiS6_iS1_PS2_S6_PiNS_24const_host_device_scalarIS2_EEb, .Lfunc_end18-_ZN9rocsparseL23csr2csr_compress_kernelILi1024ELi128ELi8ELi64EdEEvii21rocsparse_index_base_PKT3_PKiS6_iS1_PS2_S6_PiNS_24const_host_device_scalarIS2_EEb
                                        ; -- End function
	.set _ZN9rocsparseL23csr2csr_compress_kernelILi1024ELi128ELi8ELi64EdEEvii21rocsparse_index_base_PKT3_PKiS6_iS1_PS2_S6_PiNS_24const_host_device_scalarIS2_EEb.num_vgpr, 18
	.set _ZN9rocsparseL23csr2csr_compress_kernelILi1024ELi128ELi8ELi64EdEEvii21rocsparse_index_base_PKT3_PKiS6_iS1_PS2_S6_PiNS_24const_host_device_scalarIS2_EEb.num_agpr, 0
	.set _ZN9rocsparseL23csr2csr_compress_kernelILi1024ELi128ELi8ELi64EdEEvii21rocsparse_index_base_PKT3_PKiS6_iS1_PS2_S6_PiNS_24const_host_device_scalarIS2_EEb.numbered_sgpr, 12
	.set _ZN9rocsparseL23csr2csr_compress_kernelILi1024ELi128ELi8ELi64EdEEvii21rocsparse_index_base_PKT3_PKiS6_iS1_PS2_S6_PiNS_24const_host_device_scalarIS2_EEb.num_named_barrier, 0
	.set _ZN9rocsparseL23csr2csr_compress_kernelILi1024ELi128ELi8ELi64EdEEvii21rocsparse_index_base_PKT3_PKiS6_iS1_PS2_S6_PiNS_24const_host_device_scalarIS2_EEb.private_seg_size, 0
	.set _ZN9rocsparseL23csr2csr_compress_kernelILi1024ELi128ELi8ELi64EdEEvii21rocsparse_index_base_PKT3_PKiS6_iS1_PS2_S6_PiNS_24const_host_device_scalarIS2_EEb.uses_vcc, 1
	.set _ZN9rocsparseL23csr2csr_compress_kernelILi1024ELi128ELi8ELi64EdEEvii21rocsparse_index_base_PKT3_PKiS6_iS1_PS2_S6_PiNS_24const_host_device_scalarIS2_EEb.uses_flat_scratch, 0
	.set _ZN9rocsparseL23csr2csr_compress_kernelILi1024ELi128ELi8ELi64EdEEvii21rocsparse_index_base_PKT3_PKiS6_iS1_PS2_S6_PiNS_24const_host_device_scalarIS2_EEb.has_dyn_sized_stack, 0
	.set _ZN9rocsparseL23csr2csr_compress_kernelILi1024ELi128ELi8ELi64EdEEvii21rocsparse_index_base_PKT3_PKiS6_iS1_PS2_S6_PiNS_24const_host_device_scalarIS2_EEb.has_recursion, 0
	.set _ZN9rocsparseL23csr2csr_compress_kernelILi1024ELi128ELi8ELi64EdEEvii21rocsparse_index_base_PKT3_PKiS6_iS1_PS2_S6_PiNS_24const_host_device_scalarIS2_EEb.has_indirect_call, 0
	.section	.AMDGPU.csdata,"",@progbits
; Kernel info:
; codeLenInByte = 628
; TotalNumSgprs: 14
; NumVgprs: 18
; ScratchSize: 0
; MemoryBound: 0
; FloatMode: 240
; IeeeMode: 1
; LDSByteSize: 0 bytes/workgroup (compile time only)
; SGPRBlocks: 0
; VGPRBlocks: 1
; NumSGPRsForWavesPerEU: 14
; NumVGPRsForWavesPerEU: 18
; NamedBarCnt: 0
; Occupancy: 16
; WaveLimiterHint : 0
; COMPUTE_PGM_RSRC2:SCRATCH_EN: 0
; COMPUTE_PGM_RSRC2:USER_SGPR: 2
; COMPUTE_PGM_RSRC2:TRAP_HANDLER: 0
; COMPUTE_PGM_RSRC2:TGID_X_EN: 1
; COMPUTE_PGM_RSRC2:TGID_Y_EN: 0
; COMPUTE_PGM_RSRC2:TGID_Z_EN: 0
; COMPUTE_PGM_RSRC2:TIDIG_COMP_CNT: 0
	.section	.text._ZN9rocsparseL23csr2csr_compress_kernelILi1024ELi64ELi16ELi64EdEEvii21rocsparse_index_base_PKT3_PKiS6_iS1_PS2_S6_PiNS_24const_host_device_scalarIS2_EEb,"axG",@progbits,_ZN9rocsparseL23csr2csr_compress_kernelILi1024ELi64ELi16ELi64EdEEvii21rocsparse_index_base_PKT3_PKiS6_iS1_PS2_S6_PiNS_24const_host_device_scalarIS2_EEb,comdat
	.globl	_ZN9rocsparseL23csr2csr_compress_kernelILi1024ELi64ELi16ELi64EdEEvii21rocsparse_index_base_PKT3_PKiS6_iS1_PS2_S6_PiNS_24const_host_device_scalarIS2_EEb ; -- Begin function _ZN9rocsparseL23csr2csr_compress_kernelILi1024ELi64ELi16ELi64EdEEvii21rocsparse_index_base_PKT3_PKiS6_iS1_PS2_S6_PiNS_24const_host_device_scalarIS2_EEb
	.p2align	8
	.type	_ZN9rocsparseL23csr2csr_compress_kernelILi1024ELi64ELi16ELi64EdEEvii21rocsparse_index_base_PKT3_PKiS6_iS1_PS2_S6_PiNS_24const_host_device_scalarIS2_EEb,@function
_ZN9rocsparseL23csr2csr_compress_kernelILi1024ELi64ELi16ELi64EdEEvii21rocsparse_index_base_PKT3_PKiS6_iS1_PS2_S6_PiNS_24const_host_device_scalarIS2_EEb: ; @_ZN9rocsparseL23csr2csr_compress_kernelILi1024ELi64ELi16ELi64EdEEvii21rocsparse_index_base_PKT3_PKiS6_iS1_PS2_S6_PiNS_24const_host_device_scalarIS2_EEb
; %bb.0:
	s_load_b96 s[4:6], s[0:1], 0x48
	s_wait_kmcnt 0x0
	v_mov_b64_e32 v[2:3], s[4:5]
	s_bitcmp1_b32 s6, 0
	s_cselect_b32 s2, -1, 0
	s_delay_alu instid0(SALU_CYCLE_1)
	s_and_b32 vcc_lo, exec_lo, s2
	s_cbranch_vccnz .LBB19_2
; %bb.1:
	v_mov_b32_e32 v1, 0
	flat_load_b64 v[2:3], v1, s[4:5]
.LBB19_2:
	s_load_b32 s2, s[0:1], 0x0
	s_bfe_u32 s3, ttmp6, 0x4000c
	s_and_b32 s4, ttmp6, 15
	s_add_co_i32 s3, s3, 1
	s_getreg_b32 s5, hwreg(HW_REG_IB_STS2, 6, 4)
	s_mul_i32 s3, ttmp9, s3
	v_lshrrev_b32_e32 v1, 4, v0
	s_add_co_i32 s4, s4, s3
	s_cmp_eq_u32 s5, 0
	s_cselect_b32 s3, ttmp9, s4
	s_delay_alu instid0(VALU_DEP_1) | instid1(SALU_CYCLE_1)
	v_lshl_or_b32 v6, s3, 6, v1
	s_wait_kmcnt 0x0
	s_delay_alu instid0(VALU_DEP_1)
	v_cmp_gt_i32_e32 vcc_lo, s2, v6
	s_and_saveexec_b32 s2, vcc_lo
	s_cbranch_execz .LBB19_8
; %bb.3:
	s_clause 0x1
	s_load_b64 s[2:3], s[0:1], 0x18
	s_load_b32 s10, s[0:1], 0x8
	v_dual_ashrrev_i32 v7, 31, v6 :: v_dual_bitop2_b32 v1, 15, v0 bitop3:0x40
	s_wait_kmcnt 0x0
	s_delay_alu instid0(VALU_DEP_1) | instskip(NEXT) | instid1(VALU_DEP_2)
	v_lshl_add_u64 v[4:5], v[6:7], 2, s[2:3]
	v_subrev_nc_u32_e32 v8, s10, v1
	global_load_b64 v[4:5], v[4:5], off
	s_wait_loadcnt 0x0
	v_subrev_nc_u32_e32 v12, s10, v5
	v_add_nc_u32_e32 v4, v4, v8
	s_delay_alu instid0(VALU_DEP_1)
	v_cmp_lt_i32_e32 vcc_lo, v4, v12
	s_and_b32 exec_lo, exec_lo, vcc_lo
	s_cbranch_execz .LBB19_8
; %bb.4:
	s_clause 0x1
	s_load_b128 s[4:7], s[0:1], 0x30
	s_load_b64 s[2:3], s[0:1], 0x40
	v_mbcnt_lo_u32_b32 v9, -1, 0
	s_wait_kmcnt 0x0
	v_lshl_add_u64 v[6:7], v[6:7], 2, s[6:7]
	global_load_b32 v5, v[6:7], off
	s_clause 0x2
	s_load_b32 s11, s[0:1], 0x2c
	s_load_b64 s[6:7], s[0:1], 0x10
	s_load_b64 s[8:9], s[0:1], 0x20
	v_not_b32_e32 v6, v1
	v_dual_mov_b32 v1, 0 :: v_dual_bitop2_b32 v7, 48, v0 bitop3:0x40
	s_wait_xcnt 0x0
	s_mov_b32 s1, 0
	s_delay_alu instid0(VALU_DEP_2) | instskip(NEXT) | instid1(VALU_DEP_1)
	v_lshrrev_b32_e64 v0, v6, -1
	v_lshlrev_b64_e32 v[6:7], v7, v[0:1]
	v_lshl_or_b32 v7, v9, 2, 60
	s_wait_kmcnt 0x0
	s_sub_co_i32 s10, s11, s10
	s_wait_loadcnt 0x0
	v_subrev_nc_u32_e32 v8, s11, v5
	s_branch .LBB19_6
.LBB19_5:                               ;   in Loop: Header=BB19_6 Depth=1
	s_wait_xcnt 0x0
	s_or_b32 exec_lo, exec_lo, s0
	ds_bpermute_b32 v0, v7, v0
	v_add_nc_u32_e32 v4, 16, v4
	s_delay_alu instid0(VALU_DEP_1)
	v_cmp_ge_i32_e32 vcc_lo, v4, v12
	s_or_b32 s1, vcc_lo, s1
	s_wait_dscnt 0x0
	v_add_nc_u32_e32 v8, v0, v8
	s_and_not1_b32 exec_lo, exec_lo, s1
	s_cbranch_execz .LBB19_8
.LBB19_6:                               ; =>This Inner Loop Header: Depth=1
	global_load_b64 v[10:11], v4, s[6:7] scale_offset
	v_ashrrev_i32_e32 v5, 31, v4
	s_wait_loadcnt 0x0
	v_cmp_gt_f64_e32 vcc_lo, 0, v[10:11]
	v_xor_b32_e32 v0, 0x80000000, v11
	s_delay_alu instid0(VALU_DEP_1) | instskip(SKIP_1) | instid1(VALU_DEP_1)
	v_dual_mov_b32 v14, v10 :: v_dual_cndmask_b32 v15, v11, v0
	s_wait_dscnt 0x0
	v_cmp_gt_f64_e32 vcc_lo, v[14:15], v[2:3]
	v_cmp_lt_f64_e64 s0, 0x38100000, v[14:15]
	s_and_b32 s11, vcc_lo, s0
	s_delay_alu instid0(SALU_CYCLE_1) | instskip(NEXT) | instid1(VALU_DEP_1)
	v_cndmask_b32_e64 v0, 0, 1, s11
	v_cmp_ne_u32_e32 vcc_lo, 0, v0
	v_and_b32_e32 v0, vcc_lo, v6
	s_delay_alu instid0(VALU_DEP_1)
	v_bcnt_u32_b32 v0, v0, 0
	s_wait_xcnt 0x0
	s_and_saveexec_b32 s0, s11
	s_cbranch_execz .LBB19_5
; %bb.7:                                ;   in Loop: Header=BB19_6 Depth=1
	v_lshl_add_u64 v[14:15], v[4:5], 2, s[8:9]
	global_load_b32 v5, v[14:15], off
	s_wait_loadcnt 0x0
	v_dual_ashrrev_i32 v9, 31, v8 :: v_dual_add_nc_u32 v5, s10, v5
	s_wait_xcnt 0x0
	s_delay_alu instid0(VALU_DEP_1) | instskip(NEXT) | instid1(VALU_DEP_1)
	v_add_nc_u64_e32 v[14:15], v[8:9], v[0:1]
	v_lshl_add_u64 v[16:17], v[14:15], 3, s[4:5]
	v_lshl_add_u64 v[14:15], v[14:15], 2, s[2:3]
	global_store_b64 v[16:17], v[10:11], off offset:-8
	global_store_b32 v[14:15], v5, off offset:-4
	s_branch .LBB19_5
.LBB19_8:
	s_endpgm
	.section	.rodata,"a",@progbits
	.p2align	6, 0x0
	.amdhsa_kernel _ZN9rocsparseL23csr2csr_compress_kernelILi1024ELi64ELi16ELi64EdEEvii21rocsparse_index_base_PKT3_PKiS6_iS1_PS2_S6_PiNS_24const_host_device_scalarIS2_EEb
		.amdhsa_group_segment_fixed_size 0
		.amdhsa_private_segment_fixed_size 0
		.amdhsa_kernarg_size 84
		.amdhsa_user_sgpr_count 2
		.amdhsa_user_sgpr_dispatch_ptr 0
		.amdhsa_user_sgpr_queue_ptr 0
		.amdhsa_user_sgpr_kernarg_segment_ptr 1
		.amdhsa_user_sgpr_dispatch_id 0
		.amdhsa_user_sgpr_kernarg_preload_length 0
		.amdhsa_user_sgpr_kernarg_preload_offset 0
		.amdhsa_user_sgpr_private_segment_size 0
		.amdhsa_wavefront_size32 1
		.amdhsa_uses_dynamic_stack 0
		.amdhsa_enable_private_segment 0
		.amdhsa_system_sgpr_workgroup_id_x 1
		.amdhsa_system_sgpr_workgroup_id_y 0
		.amdhsa_system_sgpr_workgroup_id_z 0
		.amdhsa_system_sgpr_workgroup_info 0
		.amdhsa_system_vgpr_workitem_id 0
		.amdhsa_next_free_vgpr 18
		.amdhsa_next_free_sgpr 12
		.amdhsa_named_barrier_count 0
		.amdhsa_reserve_vcc 1
		.amdhsa_float_round_mode_32 0
		.amdhsa_float_round_mode_16_64 0
		.amdhsa_float_denorm_mode_32 3
		.amdhsa_float_denorm_mode_16_64 3
		.amdhsa_fp16_overflow 0
		.amdhsa_memory_ordered 1
		.amdhsa_forward_progress 1
		.amdhsa_inst_pref_size 5
		.amdhsa_round_robin_scheduling 0
		.amdhsa_exception_fp_ieee_invalid_op 0
		.amdhsa_exception_fp_denorm_src 0
		.amdhsa_exception_fp_ieee_div_zero 0
		.amdhsa_exception_fp_ieee_overflow 0
		.amdhsa_exception_fp_ieee_underflow 0
		.amdhsa_exception_fp_ieee_inexact 0
		.amdhsa_exception_int_div_zero 0
	.end_amdhsa_kernel
	.section	.text._ZN9rocsparseL23csr2csr_compress_kernelILi1024ELi64ELi16ELi64EdEEvii21rocsparse_index_base_PKT3_PKiS6_iS1_PS2_S6_PiNS_24const_host_device_scalarIS2_EEb,"axG",@progbits,_ZN9rocsparseL23csr2csr_compress_kernelILi1024ELi64ELi16ELi64EdEEvii21rocsparse_index_base_PKT3_PKiS6_iS1_PS2_S6_PiNS_24const_host_device_scalarIS2_EEb,comdat
.Lfunc_end19:
	.size	_ZN9rocsparseL23csr2csr_compress_kernelILi1024ELi64ELi16ELi64EdEEvii21rocsparse_index_base_PKT3_PKiS6_iS1_PS2_S6_PiNS_24const_host_device_scalarIS2_EEb, .Lfunc_end19-_ZN9rocsparseL23csr2csr_compress_kernelILi1024ELi64ELi16ELi64EdEEvii21rocsparse_index_base_PKT3_PKiS6_iS1_PS2_S6_PiNS_24const_host_device_scalarIS2_EEb
                                        ; -- End function
	.set _ZN9rocsparseL23csr2csr_compress_kernelILi1024ELi64ELi16ELi64EdEEvii21rocsparse_index_base_PKT3_PKiS6_iS1_PS2_S6_PiNS_24const_host_device_scalarIS2_EEb.num_vgpr, 18
	.set _ZN9rocsparseL23csr2csr_compress_kernelILi1024ELi64ELi16ELi64EdEEvii21rocsparse_index_base_PKT3_PKiS6_iS1_PS2_S6_PiNS_24const_host_device_scalarIS2_EEb.num_agpr, 0
	.set _ZN9rocsparseL23csr2csr_compress_kernelILi1024ELi64ELi16ELi64EdEEvii21rocsparse_index_base_PKT3_PKiS6_iS1_PS2_S6_PiNS_24const_host_device_scalarIS2_EEb.numbered_sgpr, 12
	.set _ZN9rocsparseL23csr2csr_compress_kernelILi1024ELi64ELi16ELi64EdEEvii21rocsparse_index_base_PKT3_PKiS6_iS1_PS2_S6_PiNS_24const_host_device_scalarIS2_EEb.num_named_barrier, 0
	.set _ZN9rocsparseL23csr2csr_compress_kernelILi1024ELi64ELi16ELi64EdEEvii21rocsparse_index_base_PKT3_PKiS6_iS1_PS2_S6_PiNS_24const_host_device_scalarIS2_EEb.private_seg_size, 0
	.set _ZN9rocsparseL23csr2csr_compress_kernelILi1024ELi64ELi16ELi64EdEEvii21rocsparse_index_base_PKT3_PKiS6_iS1_PS2_S6_PiNS_24const_host_device_scalarIS2_EEb.uses_vcc, 1
	.set _ZN9rocsparseL23csr2csr_compress_kernelILi1024ELi64ELi16ELi64EdEEvii21rocsparse_index_base_PKT3_PKiS6_iS1_PS2_S6_PiNS_24const_host_device_scalarIS2_EEb.uses_flat_scratch, 0
	.set _ZN9rocsparseL23csr2csr_compress_kernelILi1024ELi64ELi16ELi64EdEEvii21rocsparse_index_base_PKT3_PKiS6_iS1_PS2_S6_PiNS_24const_host_device_scalarIS2_EEb.has_dyn_sized_stack, 0
	.set _ZN9rocsparseL23csr2csr_compress_kernelILi1024ELi64ELi16ELi64EdEEvii21rocsparse_index_base_PKT3_PKiS6_iS1_PS2_S6_PiNS_24const_host_device_scalarIS2_EEb.has_recursion, 0
	.set _ZN9rocsparseL23csr2csr_compress_kernelILi1024ELi64ELi16ELi64EdEEvii21rocsparse_index_base_PKT3_PKiS6_iS1_PS2_S6_PiNS_24const_host_device_scalarIS2_EEb.has_indirect_call, 0
	.section	.AMDGPU.csdata,"",@progbits
; Kernel info:
; codeLenInByte = 628
; TotalNumSgprs: 14
; NumVgprs: 18
; ScratchSize: 0
; MemoryBound: 0
; FloatMode: 240
; IeeeMode: 1
; LDSByteSize: 0 bytes/workgroup (compile time only)
; SGPRBlocks: 0
; VGPRBlocks: 1
; NumSGPRsForWavesPerEU: 14
; NumVGPRsForWavesPerEU: 18
; NamedBarCnt: 0
; Occupancy: 16
; WaveLimiterHint : 0
; COMPUTE_PGM_RSRC2:SCRATCH_EN: 0
; COMPUTE_PGM_RSRC2:USER_SGPR: 2
; COMPUTE_PGM_RSRC2:TRAP_HANDLER: 0
; COMPUTE_PGM_RSRC2:TGID_X_EN: 1
; COMPUTE_PGM_RSRC2:TGID_Y_EN: 0
; COMPUTE_PGM_RSRC2:TGID_Z_EN: 0
; COMPUTE_PGM_RSRC2:TIDIG_COMP_CNT: 0
	.section	.text._ZN9rocsparseL23csr2csr_compress_kernelILi1024ELi32ELi32ELi64EdEEvii21rocsparse_index_base_PKT3_PKiS6_iS1_PS2_S6_PiNS_24const_host_device_scalarIS2_EEb,"axG",@progbits,_ZN9rocsparseL23csr2csr_compress_kernelILi1024ELi32ELi32ELi64EdEEvii21rocsparse_index_base_PKT3_PKiS6_iS1_PS2_S6_PiNS_24const_host_device_scalarIS2_EEb,comdat
	.globl	_ZN9rocsparseL23csr2csr_compress_kernelILi1024ELi32ELi32ELi64EdEEvii21rocsparse_index_base_PKT3_PKiS6_iS1_PS2_S6_PiNS_24const_host_device_scalarIS2_EEb ; -- Begin function _ZN9rocsparseL23csr2csr_compress_kernelILi1024ELi32ELi32ELi64EdEEvii21rocsparse_index_base_PKT3_PKiS6_iS1_PS2_S6_PiNS_24const_host_device_scalarIS2_EEb
	.p2align	8
	.type	_ZN9rocsparseL23csr2csr_compress_kernelILi1024ELi32ELi32ELi64EdEEvii21rocsparse_index_base_PKT3_PKiS6_iS1_PS2_S6_PiNS_24const_host_device_scalarIS2_EEb,@function
_ZN9rocsparseL23csr2csr_compress_kernelILi1024ELi32ELi32ELi64EdEEvii21rocsparse_index_base_PKT3_PKiS6_iS1_PS2_S6_PiNS_24const_host_device_scalarIS2_EEb: ; @_ZN9rocsparseL23csr2csr_compress_kernelILi1024ELi32ELi32ELi64EdEEvii21rocsparse_index_base_PKT3_PKiS6_iS1_PS2_S6_PiNS_24const_host_device_scalarIS2_EEb
; %bb.0:
	s_load_b96 s[4:6], s[0:1], 0x48
	s_wait_kmcnt 0x0
	v_mov_b64_e32 v[2:3], s[4:5]
	s_bitcmp1_b32 s6, 0
	s_cselect_b32 s2, -1, 0
	s_delay_alu instid0(SALU_CYCLE_1)
	s_and_b32 vcc_lo, exec_lo, s2
	s_cbranch_vccnz .LBB20_2
; %bb.1:
	v_mov_b32_e32 v1, 0
	flat_load_b64 v[2:3], v1, s[4:5]
.LBB20_2:
	s_load_b32 s2, s[0:1], 0x0
	s_bfe_u32 s3, ttmp6, 0x4000c
	s_and_b32 s4, ttmp6, 15
	s_add_co_i32 s3, s3, 1
	s_getreg_b32 s5, hwreg(HW_REG_IB_STS2, 6, 4)
	s_mul_i32 s3, ttmp9, s3
	v_lshrrev_b32_e32 v1, 5, v0
	s_add_co_i32 s4, s4, s3
	s_cmp_eq_u32 s5, 0
	s_cselect_b32 s3, ttmp9, s4
	s_delay_alu instid0(VALU_DEP_1) | instid1(SALU_CYCLE_1)
	v_lshl_or_b32 v6, s3, 5, v1
	s_wait_kmcnt 0x0
	s_delay_alu instid0(VALU_DEP_1)
	v_cmp_gt_i32_e32 vcc_lo, s2, v6
	s_and_saveexec_b32 s2, vcc_lo
	s_cbranch_execz .LBB20_8
; %bb.3:
	s_clause 0x1
	s_load_b64 s[2:3], s[0:1], 0x18
	s_load_b32 s10, s[0:1], 0x8
	v_dual_ashrrev_i32 v7, 31, v6 :: v_dual_bitop2_b32 v1, 31, v0 bitop3:0x40
	s_wait_kmcnt 0x0
	s_delay_alu instid0(VALU_DEP_1) | instskip(NEXT) | instid1(VALU_DEP_2)
	v_lshl_add_u64 v[4:5], v[6:7], 2, s[2:3]
	v_subrev_nc_u32_e32 v8, s10, v1
	global_load_b64 v[4:5], v[4:5], off
	s_wait_loadcnt 0x0
	v_subrev_nc_u32_e32 v12, s10, v5
	v_add_nc_u32_e32 v4, v4, v8
	s_delay_alu instid0(VALU_DEP_1)
	v_cmp_lt_i32_e32 vcc_lo, v4, v12
	s_and_b32 exec_lo, exec_lo, vcc_lo
	s_cbranch_execz .LBB20_8
; %bb.4:
	s_clause 0x1
	s_load_b128 s[4:7], s[0:1], 0x30
	s_load_b64 s[2:3], s[0:1], 0x40
	s_wait_kmcnt 0x0
	v_lshl_add_u64 v[6:7], v[6:7], 2, s[6:7]
	global_load_b32 v5, v[6:7], off
	s_clause 0x2
	s_load_b32 s11, s[0:1], 0x2c
	s_load_b64 s[6:7], s[0:1], 0x10
	s_load_b64 s[8:9], s[0:1], 0x20
	v_dual_mov_b32 v1, 0 :: v_dual_bitop2_b32 v6, 31, v1 bitop3:0x14
	v_and_b32_e32 v7, 32, v0
	s_wait_xcnt 0x0
	s_mov_b32 s1, 0
	s_delay_alu instid0(VALU_DEP_2) | instskip(NEXT) | instid1(VALU_DEP_1)
	v_lshrrev_b32_e64 v0, v6, -1
	v_lshlrev_b64_e32 v[6:7], v7, v[0:1]
	v_mov_b32_e32 v7, 0x7c
	s_wait_kmcnt 0x0
	s_sub_co_i32 s10, s11, s10
	s_wait_loadcnt 0x0
	v_subrev_nc_u32_e32 v8, s11, v5
	s_branch .LBB20_6
.LBB20_5:                               ;   in Loop: Header=BB20_6 Depth=1
	s_wait_xcnt 0x0
	s_or_b32 exec_lo, exec_lo, s0
	ds_bpermute_b32 v0, v7, v0
	v_add_nc_u32_e32 v4, 32, v4
	s_delay_alu instid0(VALU_DEP_1)
	v_cmp_ge_i32_e32 vcc_lo, v4, v12
	s_or_b32 s1, vcc_lo, s1
	s_wait_dscnt 0x0
	v_add_nc_u32_e32 v8, v0, v8
	s_and_not1_b32 exec_lo, exec_lo, s1
	s_cbranch_execz .LBB20_8
.LBB20_6:                               ; =>This Inner Loop Header: Depth=1
	global_load_b64 v[10:11], v4, s[6:7] scale_offset
	v_ashrrev_i32_e32 v5, 31, v4
	s_wait_loadcnt 0x0
	v_cmp_gt_f64_e32 vcc_lo, 0, v[10:11]
	v_xor_b32_e32 v0, 0x80000000, v11
	s_delay_alu instid0(VALU_DEP_1) | instskip(SKIP_1) | instid1(VALU_DEP_1)
	v_dual_mov_b32 v14, v10 :: v_dual_cndmask_b32 v15, v11, v0
	s_wait_dscnt 0x0
	v_cmp_gt_f64_e32 vcc_lo, v[14:15], v[2:3]
	v_cmp_lt_f64_e64 s0, 0x38100000, v[14:15]
	s_and_b32 s11, vcc_lo, s0
	s_delay_alu instid0(SALU_CYCLE_1) | instskip(NEXT) | instid1(VALU_DEP_1)
	v_cndmask_b32_e64 v0, 0, 1, s11
	v_cmp_ne_u32_e32 vcc_lo, 0, v0
	v_and_b32_e32 v0, vcc_lo, v6
	s_delay_alu instid0(VALU_DEP_1)
	v_bcnt_u32_b32 v0, v0, 0
	s_wait_xcnt 0x0
	s_and_saveexec_b32 s0, s11
	s_cbranch_execz .LBB20_5
; %bb.7:                                ;   in Loop: Header=BB20_6 Depth=1
	v_lshl_add_u64 v[14:15], v[4:5], 2, s[8:9]
	global_load_b32 v5, v[14:15], off
	s_wait_loadcnt 0x0
	v_dual_ashrrev_i32 v9, 31, v8 :: v_dual_add_nc_u32 v5, s10, v5
	s_wait_xcnt 0x0
	s_delay_alu instid0(VALU_DEP_1) | instskip(NEXT) | instid1(VALU_DEP_1)
	v_add_nc_u64_e32 v[14:15], v[8:9], v[0:1]
	v_lshl_add_u64 v[16:17], v[14:15], 3, s[4:5]
	v_lshl_add_u64 v[14:15], v[14:15], 2, s[2:3]
	global_store_b64 v[16:17], v[10:11], off offset:-8
	global_store_b32 v[14:15], v5, off offset:-4
	s_branch .LBB20_5
.LBB20_8:
	s_endpgm
	.section	.rodata,"a",@progbits
	.p2align	6, 0x0
	.amdhsa_kernel _ZN9rocsparseL23csr2csr_compress_kernelILi1024ELi32ELi32ELi64EdEEvii21rocsparse_index_base_PKT3_PKiS6_iS1_PS2_S6_PiNS_24const_host_device_scalarIS2_EEb
		.amdhsa_group_segment_fixed_size 0
		.amdhsa_private_segment_fixed_size 0
		.amdhsa_kernarg_size 84
		.amdhsa_user_sgpr_count 2
		.amdhsa_user_sgpr_dispatch_ptr 0
		.amdhsa_user_sgpr_queue_ptr 0
		.amdhsa_user_sgpr_kernarg_segment_ptr 1
		.amdhsa_user_sgpr_dispatch_id 0
		.amdhsa_user_sgpr_kernarg_preload_length 0
		.amdhsa_user_sgpr_kernarg_preload_offset 0
		.amdhsa_user_sgpr_private_segment_size 0
		.amdhsa_wavefront_size32 1
		.amdhsa_uses_dynamic_stack 0
		.amdhsa_enable_private_segment 0
		.amdhsa_system_sgpr_workgroup_id_x 1
		.amdhsa_system_sgpr_workgroup_id_y 0
		.amdhsa_system_sgpr_workgroup_id_z 0
		.amdhsa_system_sgpr_workgroup_info 0
		.amdhsa_system_vgpr_workitem_id 0
		.amdhsa_next_free_vgpr 18
		.amdhsa_next_free_sgpr 12
		.amdhsa_named_barrier_count 0
		.amdhsa_reserve_vcc 1
		.amdhsa_float_round_mode_32 0
		.amdhsa_float_round_mode_16_64 0
		.amdhsa_float_denorm_mode_32 3
		.amdhsa_float_denorm_mode_16_64 3
		.amdhsa_fp16_overflow 0
		.amdhsa_memory_ordered 1
		.amdhsa_forward_progress 1
		.amdhsa_inst_pref_size 5
		.amdhsa_round_robin_scheduling 0
		.amdhsa_exception_fp_ieee_invalid_op 0
		.amdhsa_exception_fp_denorm_src 0
		.amdhsa_exception_fp_ieee_div_zero 0
		.amdhsa_exception_fp_ieee_overflow 0
		.amdhsa_exception_fp_ieee_underflow 0
		.amdhsa_exception_fp_ieee_inexact 0
		.amdhsa_exception_int_div_zero 0
	.end_amdhsa_kernel
	.section	.text._ZN9rocsparseL23csr2csr_compress_kernelILi1024ELi32ELi32ELi64EdEEvii21rocsparse_index_base_PKT3_PKiS6_iS1_PS2_S6_PiNS_24const_host_device_scalarIS2_EEb,"axG",@progbits,_ZN9rocsparseL23csr2csr_compress_kernelILi1024ELi32ELi32ELi64EdEEvii21rocsparse_index_base_PKT3_PKiS6_iS1_PS2_S6_PiNS_24const_host_device_scalarIS2_EEb,comdat
.Lfunc_end20:
	.size	_ZN9rocsparseL23csr2csr_compress_kernelILi1024ELi32ELi32ELi64EdEEvii21rocsparse_index_base_PKT3_PKiS6_iS1_PS2_S6_PiNS_24const_host_device_scalarIS2_EEb, .Lfunc_end20-_ZN9rocsparseL23csr2csr_compress_kernelILi1024ELi32ELi32ELi64EdEEvii21rocsparse_index_base_PKT3_PKiS6_iS1_PS2_S6_PiNS_24const_host_device_scalarIS2_EEb
                                        ; -- End function
	.set _ZN9rocsparseL23csr2csr_compress_kernelILi1024ELi32ELi32ELi64EdEEvii21rocsparse_index_base_PKT3_PKiS6_iS1_PS2_S6_PiNS_24const_host_device_scalarIS2_EEb.num_vgpr, 18
	.set _ZN9rocsparseL23csr2csr_compress_kernelILi1024ELi32ELi32ELi64EdEEvii21rocsparse_index_base_PKT3_PKiS6_iS1_PS2_S6_PiNS_24const_host_device_scalarIS2_EEb.num_agpr, 0
	.set _ZN9rocsparseL23csr2csr_compress_kernelILi1024ELi32ELi32ELi64EdEEvii21rocsparse_index_base_PKT3_PKiS6_iS1_PS2_S6_PiNS_24const_host_device_scalarIS2_EEb.numbered_sgpr, 12
	.set _ZN9rocsparseL23csr2csr_compress_kernelILi1024ELi32ELi32ELi64EdEEvii21rocsparse_index_base_PKT3_PKiS6_iS1_PS2_S6_PiNS_24const_host_device_scalarIS2_EEb.num_named_barrier, 0
	.set _ZN9rocsparseL23csr2csr_compress_kernelILi1024ELi32ELi32ELi64EdEEvii21rocsparse_index_base_PKT3_PKiS6_iS1_PS2_S6_PiNS_24const_host_device_scalarIS2_EEb.private_seg_size, 0
	.set _ZN9rocsparseL23csr2csr_compress_kernelILi1024ELi32ELi32ELi64EdEEvii21rocsparse_index_base_PKT3_PKiS6_iS1_PS2_S6_PiNS_24const_host_device_scalarIS2_EEb.uses_vcc, 1
	.set _ZN9rocsparseL23csr2csr_compress_kernelILi1024ELi32ELi32ELi64EdEEvii21rocsparse_index_base_PKT3_PKiS6_iS1_PS2_S6_PiNS_24const_host_device_scalarIS2_EEb.uses_flat_scratch, 0
	.set _ZN9rocsparseL23csr2csr_compress_kernelILi1024ELi32ELi32ELi64EdEEvii21rocsparse_index_base_PKT3_PKiS6_iS1_PS2_S6_PiNS_24const_host_device_scalarIS2_EEb.has_dyn_sized_stack, 0
	.set _ZN9rocsparseL23csr2csr_compress_kernelILi1024ELi32ELi32ELi64EdEEvii21rocsparse_index_base_PKT3_PKiS6_iS1_PS2_S6_PiNS_24const_host_device_scalarIS2_EEb.has_recursion, 0
	.set _ZN9rocsparseL23csr2csr_compress_kernelILi1024ELi32ELi32ELi64EdEEvii21rocsparse_index_base_PKT3_PKiS6_iS1_PS2_S6_PiNS_24const_host_device_scalarIS2_EEb.has_indirect_call, 0
	.section	.AMDGPU.csdata,"",@progbits
; Kernel info:
; codeLenInByte = 620
; TotalNumSgprs: 14
; NumVgprs: 18
; ScratchSize: 0
; MemoryBound: 0
; FloatMode: 240
; IeeeMode: 1
; LDSByteSize: 0 bytes/workgroup (compile time only)
; SGPRBlocks: 0
; VGPRBlocks: 1
; NumSGPRsForWavesPerEU: 14
; NumVGPRsForWavesPerEU: 18
; NamedBarCnt: 0
; Occupancy: 16
; WaveLimiterHint : 0
; COMPUTE_PGM_RSRC2:SCRATCH_EN: 0
; COMPUTE_PGM_RSRC2:USER_SGPR: 2
; COMPUTE_PGM_RSRC2:TRAP_HANDLER: 0
; COMPUTE_PGM_RSRC2:TGID_X_EN: 1
; COMPUTE_PGM_RSRC2:TGID_Y_EN: 0
; COMPUTE_PGM_RSRC2:TGID_Z_EN: 0
; COMPUTE_PGM_RSRC2:TIDIG_COMP_CNT: 0
	.section	.text._ZN9rocsparseL23csr2csr_compress_kernelILi1024ELi16ELi64ELi64EdEEvii21rocsparse_index_base_PKT3_PKiS6_iS1_PS2_S6_PiNS_24const_host_device_scalarIS2_EEb,"axG",@progbits,_ZN9rocsparseL23csr2csr_compress_kernelILi1024ELi16ELi64ELi64EdEEvii21rocsparse_index_base_PKT3_PKiS6_iS1_PS2_S6_PiNS_24const_host_device_scalarIS2_EEb,comdat
	.globl	_ZN9rocsparseL23csr2csr_compress_kernelILi1024ELi16ELi64ELi64EdEEvii21rocsparse_index_base_PKT3_PKiS6_iS1_PS2_S6_PiNS_24const_host_device_scalarIS2_EEb ; -- Begin function _ZN9rocsparseL23csr2csr_compress_kernelILi1024ELi16ELi64ELi64EdEEvii21rocsparse_index_base_PKT3_PKiS6_iS1_PS2_S6_PiNS_24const_host_device_scalarIS2_EEb
	.p2align	8
	.type	_ZN9rocsparseL23csr2csr_compress_kernelILi1024ELi16ELi64ELi64EdEEvii21rocsparse_index_base_PKT3_PKiS6_iS1_PS2_S6_PiNS_24const_host_device_scalarIS2_EEb,@function
_ZN9rocsparseL23csr2csr_compress_kernelILi1024ELi16ELi64ELi64EdEEvii21rocsparse_index_base_PKT3_PKiS6_iS1_PS2_S6_PiNS_24const_host_device_scalarIS2_EEb: ; @_ZN9rocsparseL23csr2csr_compress_kernelILi1024ELi16ELi64ELi64EdEEvii21rocsparse_index_base_PKT3_PKiS6_iS1_PS2_S6_PiNS_24const_host_device_scalarIS2_EEb
; %bb.0:
	s_load_b96 s[4:6], s[0:1], 0x48
	s_wait_kmcnt 0x0
	v_mov_b64_e32 v[2:3], s[4:5]
	s_bitcmp1_b32 s6, 0
	s_cselect_b32 s2, -1, 0
	s_delay_alu instid0(SALU_CYCLE_1)
	s_and_b32 vcc_lo, exec_lo, s2
	s_cbranch_vccnz .LBB21_2
; %bb.1:
	v_mov_b32_e32 v1, 0
	flat_load_b64 v[2:3], v1, s[4:5]
.LBB21_2:
	s_load_b32 s2, s[0:1], 0x0
	s_bfe_u32 s3, ttmp6, 0x4000c
	s_and_b32 s4, ttmp6, 15
	s_add_co_i32 s3, s3, 1
	s_getreg_b32 s5, hwreg(HW_REG_IB_STS2, 6, 4)
	s_mul_i32 s3, ttmp9, s3
	v_lshrrev_b32_e32 v1, 6, v0
	s_add_co_i32 s4, s4, s3
	s_cmp_eq_u32 s5, 0
	s_cselect_b32 s3, ttmp9, s4
	s_delay_alu instid0(VALU_DEP_1) | instid1(SALU_CYCLE_1)
	v_lshl_or_b32 v4, s3, 4, v1
	s_wait_kmcnt 0x0
	s_delay_alu instid0(VALU_DEP_1)
	v_cmp_gt_i32_e32 vcc_lo, s2, v4
	s_and_saveexec_b32 s2, vcc_lo
	s_cbranch_execz .LBB21_8
; %bb.3:
	s_clause 0x1
	s_load_b64 s[2:3], s[0:1], 0x18
	s_load_b32 s10, s[0:1], 0x8
	v_ashrrev_i32_e32 v5, 31, v4
	s_wait_kmcnt 0x0
	s_delay_alu instid0(VALU_DEP_1) | instskip(SKIP_2) | instid1(VALU_DEP_1)
	v_lshl_add_u64 v[6:7], v[4:5], 2, s[2:3]
	global_load_b64 v[6:7], v[6:7], off
	v_and_b32_e32 v1, 63, v0
	v_subrev_nc_u32_e32 v0, s10, v1
	s_wait_loadcnt 0x0
	v_subrev_nc_u32_e32 v12, s10, v7
	s_delay_alu instid0(VALU_DEP_2) | instskip(NEXT) | instid1(VALU_DEP_1)
	v_add_nc_u32_e32 v0, v6, v0
	v_cmp_lt_i32_e32 vcc_lo, v0, v12
	s_and_b32 exec_lo, exec_lo, vcc_lo
	s_cbranch_execz .LBB21_8
; %bb.4:
	s_clause 0x1
	s_load_b128 s[4:7], s[0:1], 0x30
	s_load_b64 s[2:3], s[0:1], 0x40
	v_dual_mov_b32 v9, 0 :: v_dual_bitop2_b32 v1, 63, v1 bitop3:0x14
	v_bfrev_b32_e32 v13, 0.5
	s_wait_kmcnt 0x0
	v_lshl_add_u64 v[4:5], v[4:5], 2, s[6:7]
	global_load_b32 v6, v[4:5], off
	s_clause 0x2
	s_load_b32 s11, s[0:1], 0x2c
	s_load_b64 s[6:7], s[0:1], 0x10
	s_load_b64 s[8:9], s[0:1], 0x20
	v_lshrrev_b64 v[4:5], v1, -1
	s_wait_kmcnt 0x0
	s_sub_co_i32 s1, s11, s10
	s_mov_b32 s10, 0
	s_wait_loadcnt 0x0
	v_subrev_nc_u32_e32 v6, s11, v6
	s_branch .LBB21_6
.LBB21_5:                               ;   in Loop: Header=BB21_6 Depth=1
	s_wait_xcnt 0x0
	s_or_b32 exec_lo, exec_lo, s0
	ds_bpermute_b32 v1, v13, v8
	s_wait_dscnt 0x0
	v_dual_add_nc_u32 v0, 64, v0 :: v_dual_add_nc_u32 v6, v1, v6
	s_delay_alu instid0(VALU_DEP_1) | instskip(SKIP_1) | instid1(SALU_CYCLE_1)
	v_cmp_ge_i32_e32 vcc_lo, v0, v12
	s_or_b32 s10, vcc_lo, s10
	s_and_not1_b32 exec_lo, exec_lo, s10
	s_cbranch_execz .LBB21_8
.LBB21_6:                               ; =>This Inner Loop Header: Depth=1
	global_load_b64 v[10:11], v0, s[6:7] scale_offset
	s_wait_loadcnt 0x0
	v_cmp_gt_f64_e32 vcc_lo, 0, v[10:11]
	v_xor_b32_e32 v1, 0x80000000, v11
	s_delay_alu instid0(VALU_DEP_1) | instskip(SKIP_1) | instid1(VALU_DEP_1)
	v_dual_mov_b32 v14, v10 :: v_dual_cndmask_b32 v15, v11, v1
	s_wait_dscnt 0x0
	v_cmp_gt_f64_e32 vcc_lo, v[14:15], v[2:3]
	v_cmp_lt_f64_e64 s0, 0x38100000, v[14:15]
	s_and_b32 s11, vcc_lo, s0
	s_delay_alu instid0(SALU_CYCLE_1) | instskip(NEXT) | instid1(VALU_DEP_1)
	v_cndmask_b32_e64 v1, 0, 1, s11
	v_cmp_ne_u32_e32 vcc_lo, 0, v1
	v_ashrrev_i32_e32 v1, 31, v0
	v_and_b32_e32 v5, vcc_lo, v4
	s_delay_alu instid0(VALU_DEP_1)
	v_bcnt_u32_b32 v8, v5, 0
	s_wait_xcnt 0x0
	s_and_saveexec_b32 s0, s11
	s_cbranch_execz .LBB21_5
; %bb.7:                                ;   in Loop: Header=BB21_6 Depth=1
	v_lshl_add_u64 v[14:15], v[0:1], 2, s[8:9]
	global_load_b32 v1, v[14:15], off
	s_wait_loadcnt 0x0
	v_dual_ashrrev_i32 v7, 31, v6 :: v_dual_add_nc_u32 v1, s1, v1
	s_wait_xcnt 0x0
	s_delay_alu instid0(VALU_DEP_1) | instskip(NEXT) | instid1(VALU_DEP_1)
	v_add_nc_u64_e32 v[14:15], v[6:7], v[8:9]
	v_lshl_add_u64 v[16:17], v[14:15], 3, s[4:5]
	v_lshl_add_u64 v[14:15], v[14:15], 2, s[2:3]
	global_store_b64 v[16:17], v[10:11], off offset:-8
	global_store_b32 v[14:15], v1, off offset:-4
	s_branch .LBB21_5
.LBB21_8:
	s_endpgm
	.section	.rodata,"a",@progbits
	.p2align	6, 0x0
	.amdhsa_kernel _ZN9rocsparseL23csr2csr_compress_kernelILi1024ELi16ELi64ELi64EdEEvii21rocsparse_index_base_PKT3_PKiS6_iS1_PS2_S6_PiNS_24const_host_device_scalarIS2_EEb
		.amdhsa_group_segment_fixed_size 0
		.amdhsa_private_segment_fixed_size 0
		.amdhsa_kernarg_size 84
		.amdhsa_user_sgpr_count 2
		.amdhsa_user_sgpr_dispatch_ptr 0
		.amdhsa_user_sgpr_queue_ptr 0
		.amdhsa_user_sgpr_kernarg_segment_ptr 1
		.amdhsa_user_sgpr_dispatch_id 0
		.amdhsa_user_sgpr_kernarg_preload_length 0
		.amdhsa_user_sgpr_kernarg_preload_offset 0
		.amdhsa_user_sgpr_private_segment_size 0
		.amdhsa_wavefront_size32 1
		.amdhsa_uses_dynamic_stack 0
		.amdhsa_enable_private_segment 0
		.amdhsa_system_sgpr_workgroup_id_x 1
		.amdhsa_system_sgpr_workgroup_id_y 0
		.amdhsa_system_sgpr_workgroup_id_z 0
		.amdhsa_system_sgpr_workgroup_info 0
		.amdhsa_system_vgpr_workitem_id 0
		.amdhsa_next_free_vgpr 18
		.amdhsa_next_free_sgpr 12
		.amdhsa_named_barrier_count 0
		.amdhsa_reserve_vcc 1
		.amdhsa_float_round_mode_32 0
		.amdhsa_float_round_mode_16_64 0
		.amdhsa_float_denorm_mode_32 3
		.amdhsa_float_denorm_mode_16_64 3
		.amdhsa_fp16_overflow 0
		.amdhsa_memory_ordered 1
		.amdhsa_forward_progress 1
		.amdhsa_inst_pref_size 5
		.amdhsa_round_robin_scheduling 0
		.amdhsa_exception_fp_ieee_invalid_op 0
		.amdhsa_exception_fp_denorm_src 0
		.amdhsa_exception_fp_ieee_div_zero 0
		.amdhsa_exception_fp_ieee_overflow 0
		.amdhsa_exception_fp_ieee_underflow 0
		.amdhsa_exception_fp_ieee_inexact 0
		.amdhsa_exception_int_div_zero 0
	.end_amdhsa_kernel
	.section	.text._ZN9rocsparseL23csr2csr_compress_kernelILi1024ELi16ELi64ELi64EdEEvii21rocsparse_index_base_PKT3_PKiS6_iS1_PS2_S6_PiNS_24const_host_device_scalarIS2_EEb,"axG",@progbits,_ZN9rocsparseL23csr2csr_compress_kernelILi1024ELi16ELi64ELi64EdEEvii21rocsparse_index_base_PKT3_PKiS6_iS1_PS2_S6_PiNS_24const_host_device_scalarIS2_EEb,comdat
.Lfunc_end21:
	.size	_ZN9rocsparseL23csr2csr_compress_kernelILi1024ELi16ELi64ELi64EdEEvii21rocsparse_index_base_PKT3_PKiS6_iS1_PS2_S6_PiNS_24const_host_device_scalarIS2_EEb, .Lfunc_end21-_ZN9rocsparseL23csr2csr_compress_kernelILi1024ELi16ELi64ELi64EdEEvii21rocsparse_index_base_PKT3_PKiS6_iS1_PS2_S6_PiNS_24const_host_device_scalarIS2_EEb
                                        ; -- End function
	.set _ZN9rocsparseL23csr2csr_compress_kernelILi1024ELi16ELi64ELi64EdEEvii21rocsparse_index_base_PKT3_PKiS6_iS1_PS2_S6_PiNS_24const_host_device_scalarIS2_EEb.num_vgpr, 18
	.set _ZN9rocsparseL23csr2csr_compress_kernelILi1024ELi16ELi64ELi64EdEEvii21rocsparse_index_base_PKT3_PKiS6_iS1_PS2_S6_PiNS_24const_host_device_scalarIS2_EEb.num_agpr, 0
	.set _ZN9rocsparseL23csr2csr_compress_kernelILi1024ELi16ELi64ELi64EdEEvii21rocsparse_index_base_PKT3_PKiS6_iS1_PS2_S6_PiNS_24const_host_device_scalarIS2_EEb.numbered_sgpr, 12
	.set _ZN9rocsparseL23csr2csr_compress_kernelILi1024ELi16ELi64ELi64EdEEvii21rocsparse_index_base_PKT3_PKiS6_iS1_PS2_S6_PiNS_24const_host_device_scalarIS2_EEb.num_named_barrier, 0
	.set _ZN9rocsparseL23csr2csr_compress_kernelILi1024ELi16ELi64ELi64EdEEvii21rocsparse_index_base_PKT3_PKiS6_iS1_PS2_S6_PiNS_24const_host_device_scalarIS2_EEb.private_seg_size, 0
	.set _ZN9rocsparseL23csr2csr_compress_kernelILi1024ELi16ELi64ELi64EdEEvii21rocsparse_index_base_PKT3_PKiS6_iS1_PS2_S6_PiNS_24const_host_device_scalarIS2_EEb.uses_vcc, 1
	.set _ZN9rocsparseL23csr2csr_compress_kernelILi1024ELi16ELi64ELi64EdEEvii21rocsparse_index_base_PKT3_PKiS6_iS1_PS2_S6_PiNS_24const_host_device_scalarIS2_EEb.uses_flat_scratch, 0
	.set _ZN9rocsparseL23csr2csr_compress_kernelILi1024ELi16ELi64ELi64EdEEvii21rocsparse_index_base_PKT3_PKiS6_iS1_PS2_S6_PiNS_24const_host_device_scalarIS2_EEb.has_dyn_sized_stack, 0
	.set _ZN9rocsparseL23csr2csr_compress_kernelILi1024ELi16ELi64ELi64EdEEvii21rocsparse_index_base_PKT3_PKiS6_iS1_PS2_S6_PiNS_24const_host_device_scalarIS2_EEb.has_recursion, 0
	.set _ZN9rocsparseL23csr2csr_compress_kernelILi1024ELi16ELi64ELi64EdEEvii21rocsparse_index_base_PKT3_PKiS6_iS1_PS2_S6_PiNS_24const_host_device_scalarIS2_EEb.has_indirect_call, 0
	.section	.AMDGPU.csdata,"",@progbits
; Kernel info:
; codeLenInByte = 600
; TotalNumSgprs: 14
; NumVgprs: 18
; ScratchSize: 0
; MemoryBound: 0
; FloatMode: 240
; IeeeMode: 1
; LDSByteSize: 0 bytes/workgroup (compile time only)
; SGPRBlocks: 0
; VGPRBlocks: 1
; NumSGPRsForWavesPerEU: 14
; NumVGPRsForWavesPerEU: 18
; NamedBarCnt: 0
; Occupancy: 16
; WaveLimiterHint : 0
; COMPUTE_PGM_RSRC2:SCRATCH_EN: 0
; COMPUTE_PGM_RSRC2:USER_SGPR: 2
; COMPUTE_PGM_RSRC2:TRAP_HANDLER: 0
; COMPUTE_PGM_RSRC2:TGID_X_EN: 1
; COMPUTE_PGM_RSRC2:TGID_Y_EN: 0
; COMPUTE_PGM_RSRC2:TGID_Z_EN: 0
; COMPUTE_PGM_RSRC2:TIDIG_COMP_CNT: 0
	.section	.AMDGPU.gpr_maximums,"",@progbits
	.set amdgpu.max_num_vgpr, 0
	.set amdgpu.max_num_agpr, 0
	.set amdgpu.max_num_sgpr, 0
	.section	.AMDGPU.csdata,"",@progbits
	.type	__hip_cuid_3351b91300176f8a,@object ; @__hip_cuid_3351b91300176f8a
	.section	.bss,"aw",@nobits
	.globl	__hip_cuid_3351b91300176f8a
__hip_cuid_3351b91300176f8a:
	.byte	0                               ; 0x0
	.size	__hip_cuid_3351b91300176f8a, 1

	.ident	"AMD clang version 22.0.0git (https://github.com/RadeonOpenCompute/llvm-project roc-7.2.4 26084 f58b06dce1f9c15707c5f808fd002e18c2accf7e)"
	.section	".note.GNU-stack","",@progbits
	.addrsig
	.addrsig_sym __hip_cuid_3351b91300176f8a
	.amdgpu_metadata
---
amdhsa.kernels:
  - .args:
      - .offset:         0
        .size:           4
        .value_kind:     by_value
      - .offset:         4
        .size:           4
        .value_kind:     by_value
      - .offset:         8
        .size:           4
        .value_kind:     by_value
      - .actual_access:  read_only
        .address_space:  global
        .offset:         16
        .size:           8
        .value_kind:     global_buffer
      - .actual_access:  read_only
        .address_space:  global
        .offset:         24
        .size:           8
        .value_kind:     global_buffer
      - .actual_access:  read_only
        .address_space:  global
        .offset:         32
        .size:           8
        .value_kind:     global_buffer
      - .offset:         40
        .size:           4
        .value_kind:     by_value
      - .offset:         44
        .size:           4
        .value_kind:     by_value
      - .actual_access:  write_only
        .address_space:  global
        .offset:         48
        .size:           8
        .value_kind:     global_buffer
      - .actual_access:  read_only
        .address_space:  global
        .offset:         56
        .size:           8
        .value_kind:     global_buffer
      - .actual_access:  write_only
        .address_space:  global
        .offset:         64
        .size:           8
        .value_kind:     global_buffer
      - .offset:         72
        .size:           8
        .value_kind:     by_value
      - .offset:         80
        .size:           1
        .value_kind:     by_value
    .group_segment_fixed_size: 0
    .kernarg_segment_align: 8
    .kernarg_segment_size: 84
    .language:       OpenCL C
    .language_version:
      - 2
      - 0
    .max_flat_workgroup_size: 1024
    .name:           _ZN9rocsparseL23csr2csr_compress_kernelILi1024ELi512ELi2ELi32EfEEvii21rocsparse_index_base_PKT3_PKiS6_iS1_PS2_S6_PiNS_24const_host_device_scalarIS2_EEb
    .private_segment_fixed_size: 0
    .sgpr_count:     15
    .sgpr_spill_count: 0
    .symbol:         _ZN9rocsparseL23csr2csr_compress_kernelILi1024ELi512ELi2ELi32EfEEvii21rocsparse_index_base_PKT3_PKiS6_iS1_PS2_S6_PiNS_24const_host_device_scalarIS2_EEb.kd
    .uniform_work_group_size: 1
    .uses_dynamic_stack: false
    .vgpr_count:     14
    .vgpr_spill_count: 0
    .wavefront_size: 32
  - .args:
      - .offset:         0
        .size:           4
        .value_kind:     by_value
      - .offset:         4
        .size:           4
        .value_kind:     by_value
      - .offset:         8
        .size:           4
        .value_kind:     by_value
      - .actual_access:  read_only
        .address_space:  global
        .offset:         16
        .size:           8
        .value_kind:     global_buffer
      - .actual_access:  read_only
        .address_space:  global
        .offset:         24
        .size:           8
        .value_kind:     global_buffer
      - .actual_access:  read_only
        .address_space:  global
        .offset:         32
        .size:           8
        .value_kind:     global_buffer
      - .offset:         40
        .size:           4
        .value_kind:     by_value
      - .offset:         44
        .size:           4
        .value_kind:     by_value
      - .actual_access:  write_only
        .address_space:  global
        .offset:         48
        .size:           8
        .value_kind:     global_buffer
      - .actual_access:  read_only
        .address_space:  global
        .offset:         56
        .size:           8
        .value_kind:     global_buffer
      - .actual_access:  write_only
        .address_space:  global
        .offset:         64
        .size:           8
        .value_kind:     global_buffer
      - .offset:         72
        .size:           8
        .value_kind:     by_value
      - .offset:         80
        .size:           1
        .value_kind:     by_value
    .group_segment_fixed_size: 0
    .kernarg_segment_align: 8
    .kernarg_segment_size: 84
    .language:       OpenCL C
    .language_version:
      - 2
      - 0
    .max_flat_workgroup_size: 1024
    .name:           _ZN9rocsparseL23csr2csr_compress_kernelILi1024ELi256ELi4ELi32EfEEvii21rocsparse_index_base_PKT3_PKiS6_iS1_PS2_S6_PiNS_24const_host_device_scalarIS2_EEb
    .private_segment_fixed_size: 0
    .sgpr_count:     15
    .sgpr_spill_count: 0
    .symbol:         _ZN9rocsparseL23csr2csr_compress_kernelILi1024ELi256ELi4ELi32EfEEvii21rocsparse_index_base_PKT3_PKiS6_iS1_PS2_S6_PiNS_24const_host_device_scalarIS2_EEb.kd
    .uniform_work_group_size: 1
    .uses_dynamic_stack: false
    .vgpr_count:     14
    .vgpr_spill_count: 0
    .wavefront_size: 32
  - .args:
      - .offset:         0
        .size:           4
        .value_kind:     by_value
      - .offset:         4
        .size:           4
        .value_kind:     by_value
      - .offset:         8
        .size:           4
        .value_kind:     by_value
      - .actual_access:  read_only
        .address_space:  global
        .offset:         16
        .size:           8
        .value_kind:     global_buffer
      - .actual_access:  read_only
        .address_space:  global
        .offset:         24
        .size:           8
        .value_kind:     global_buffer
      - .actual_access:  read_only
        .address_space:  global
        .offset:         32
        .size:           8
        .value_kind:     global_buffer
      - .offset:         40
        .size:           4
        .value_kind:     by_value
      - .offset:         44
        .size:           4
        .value_kind:     by_value
      - .actual_access:  write_only
        .address_space:  global
        .offset:         48
        .size:           8
        .value_kind:     global_buffer
      - .actual_access:  read_only
        .address_space:  global
        .offset:         56
        .size:           8
        .value_kind:     global_buffer
      - .actual_access:  write_only
        .address_space:  global
        .offset:         64
        .size:           8
        .value_kind:     global_buffer
      - .offset:         72
        .size:           8
        .value_kind:     by_value
      - .offset:         80
        .size:           1
        .value_kind:     by_value
    .group_segment_fixed_size: 0
    .kernarg_segment_align: 8
    .kernarg_segment_size: 84
    .language:       OpenCL C
    .language_version:
      - 2
      - 0
    .max_flat_workgroup_size: 1024
    .name:           _ZN9rocsparseL23csr2csr_compress_kernelILi1024ELi128ELi8ELi32EfEEvii21rocsparse_index_base_PKT3_PKiS6_iS1_PS2_S6_PiNS_24const_host_device_scalarIS2_EEb
    .private_segment_fixed_size: 0
    .sgpr_count:     15
    .sgpr_spill_count: 0
    .symbol:         _ZN9rocsparseL23csr2csr_compress_kernelILi1024ELi128ELi8ELi32EfEEvii21rocsparse_index_base_PKT3_PKiS6_iS1_PS2_S6_PiNS_24const_host_device_scalarIS2_EEb.kd
    .uniform_work_group_size: 1
    .uses_dynamic_stack: false
    .vgpr_count:     14
    .vgpr_spill_count: 0
    .wavefront_size: 32
  - .args:
      - .offset:         0
        .size:           4
        .value_kind:     by_value
      - .offset:         4
        .size:           4
        .value_kind:     by_value
      - .offset:         8
        .size:           4
        .value_kind:     by_value
      - .actual_access:  read_only
        .address_space:  global
        .offset:         16
        .size:           8
        .value_kind:     global_buffer
      - .actual_access:  read_only
        .address_space:  global
        .offset:         24
        .size:           8
        .value_kind:     global_buffer
      - .actual_access:  read_only
        .address_space:  global
        .offset:         32
        .size:           8
        .value_kind:     global_buffer
      - .offset:         40
        .size:           4
        .value_kind:     by_value
      - .offset:         44
        .size:           4
        .value_kind:     by_value
      - .actual_access:  write_only
        .address_space:  global
        .offset:         48
        .size:           8
        .value_kind:     global_buffer
      - .actual_access:  read_only
        .address_space:  global
        .offset:         56
        .size:           8
        .value_kind:     global_buffer
      - .actual_access:  write_only
        .address_space:  global
        .offset:         64
        .size:           8
        .value_kind:     global_buffer
      - .offset:         72
        .size:           8
        .value_kind:     by_value
      - .offset:         80
        .size:           1
        .value_kind:     by_value
    .group_segment_fixed_size: 0
    .kernarg_segment_align: 8
    .kernarg_segment_size: 84
    .language:       OpenCL C
    .language_version:
      - 2
      - 0
    .max_flat_workgroup_size: 1024
    .name:           _ZN9rocsparseL23csr2csr_compress_kernelILi1024ELi64ELi16ELi32EfEEvii21rocsparse_index_base_PKT3_PKiS6_iS1_PS2_S6_PiNS_24const_host_device_scalarIS2_EEb
    .private_segment_fixed_size: 0
    .sgpr_count:     15
    .sgpr_spill_count: 0
    .symbol:         _ZN9rocsparseL23csr2csr_compress_kernelILi1024ELi64ELi16ELi32EfEEvii21rocsparse_index_base_PKT3_PKiS6_iS1_PS2_S6_PiNS_24const_host_device_scalarIS2_EEb.kd
    .uniform_work_group_size: 1
    .uses_dynamic_stack: false
    .vgpr_count:     14
    .vgpr_spill_count: 0
    .wavefront_size: 32
  - .args:
      - .offset:         0
        .size:           4
        .value_kind:     by_value
      - .offset:         4
        .size:           4
        .value_kind:     by_value
      - .offset:         8
        .size:           4
        .value_kind:     by_value
      - .actual_access:  read_only
        .address_space:  global
        .offset:         16
        .size:           8
        .value_kind:     global_buffer
      - .actual_access:  read_only
        .address_space:  global
        .offset:         24
        .size:           8
        .value_kind:     global_buffer
      - .actual_access:  read_only
        .address_space:  global
        .offset:         32
        .size:           8
        .value_kind:     global_buffer
      - .offset:         40
        .size:           4
        .value_kind:     by_value
      - .offset:         44
        .size:           4
        .value_kind:     by_value
      - .actual_access:  write_only
        .address_space:  global
        .offset:         48
        .size:           8
        .value_kind:     global_buffer
      - .actual_access:  read_only
        .address_space:  global
        .offset:         56
        .size:           8
        .value_kind:     global_buffer
      - .actual_access:  write_only
        .address_space:  global
        .offset:         64
        .size:           8
        .value_kind:     global_buffer
      - .offset:         72
        .size:           8
        .value_kind:     by_value
      - .offset:         80
        .size:           1
        .value_kind:     by_value
    .group_segment_fixed_size: 0
    .kernarg_segment_align: 8
    .kernarg_segment_size: 84
    .language:       OpenCL C
    .language_version:
      - 2
      - 0
    .max_flat_workgroup_size: 1024
    .name:           _ZN9rocsparseL23csr2csr_compress_kernelILi1024ELi32ELi32ELi32EfEEvii21rocsparse_index_base_PKT3_PKiS6_iS1_PS2_S6_PiNS_24const_host_device_scalarIS2_EEb
    .private_segment_fixed_size: 0
    .sgpr_count:     15
    .sgpr_spill_count: 0
    .symbol:         _ZN9rocsparseL23csr2csr_compress_kernelILi1024ELi32ELi32ELi32EfEEvii21rocsparse_index_base_PKT3_PKiS6_iS1_PS2_S6_PiNS_24const_host_device_scalarIS2_EEb.kd
    .uniform_work_group_size: 1
    .uses_dynamic_stack: false
    .vgpr_count:     14
    .vgpr_spill_count: 0
    .wavefront_size: 32
  - .args:
      - .offset:         0
        .size:           4
        .value_kind:     by_value
      - .offset:         4
        .size:           4
        .value_kind:     by_value
      - .offset:         8
        .size:           4
        .value_kind:     by_value
      - .actual_access:  read_only
        .address_space:  global
        .offset:         16
        .size:           8
        .value_kind:     global_buffer
      - .actual_access:  read_only
        .address_space:  global
        .offset:         24
        .size:           8
        .value_kind:     global_buffer
      - .actual_access:  read_only
        .address_space:  global
        .offset:         32
        .size:           8
        .value_kind:     global_buffer
      - .offset:         40
        .size:           4
        .value_kind:     by_value
      - .offset:         44
        .size:           4
        .value_kind:     by_value
      - .actual_access:  write_only
        .address_space:  global
        .offset:         48
        .size:           8
        .value_kind:     global_buffer
      - .actual_access:  read_only
        .address_space:  global
        .offset:         56
        .size:           8
        .value_kind:     global_buffer
      - .actual_access:  write_only
        .address_space:  global
        .offset:         64
        .size:           8
        .value_kind:     global_buffer
      - .offset:         72
        .size:           8
        .value_kind:     by_value
      - .offset:         80
        .size:           1
        .value_kind:     by_value
    .group_segment_fixed_size: 0
    .kernarg_segment_align: 8
    .kernarg_segment_size: 84
    .language:       OpenCL C
    .language_version:
      - 2
      - 0
    .max_flat_workgroup_size: 1024
    .name:           _ZN9rocsparseL23csr2csr_compress_kernelILi1024ELi512ELi2ELi64EfEEvii21rocsparse_index_base_PKT3_PKiS6_iS1_PS2_S6_PiNS_24const_host_device_scalarIS2_EEb
    .private_segment_fixed_size: 0
    .sgpr_count:     15
    .sgpr_spill_count: 0
    .symbol:         _ZN9rocsparseL23csr2csr_compress_kernelILi1024ELi512ELi2ELi64EfEEvii21rocsparse_index_base_PKT3_PKiS6_iS1_PS2_S6_PiNS_24const_host_device_scalarIS2_EEb.kd
    .uniform_work_group_size: 1
    .uses_dynamic_stack: false
    .vgpr_count:     14
    .vgpr_spill_count: 0
    .wavefront_size: 32
  - .args:
      - .offset:         0
        .size:           4
        .value_kind:     by_value
      - .offset:         4
        .size:           4
        .value_kind:     by_value
      - .offset:         8
        .size:           4
        .value_kind:     by_value
      - .actual_access:  read_only
        .address_space:  global
        .offset:         16
        .size:           8
        .value_kind:     global_buffer
      - .actual_access:  read_only
        .address_space:  global
        .offset:         24
        .size:           8
        .value_kind:     global_buffer
      - .actual_access:  read_only
        .address_space:  global
        .offset:         32
        .size:           8
        .value_kind:     global_buffer
      - .offset:         40
        .size:           4
        .value_kind:     by_value
      - .offset:         44
        .size:           4
        .value_kind:     by_value
      - .actual_access:  write_only
        .address_space:  global
        .offset:         48
        .size:           8
        .value_kind:     global_buffer
      - .actual_access:  read_only
        .address_space:  global
        .offset:         56
        .size:           8
        .value_kind:     global_buffer
      - .actual_access:  write_only
        .address_space:  global
        .offset:         64
        .size:           8
        .value_kind:     global_buffer
      - .offset:         72
        .size:           8
        .value_kind:     by_value
      - .offset:         80
        .size:           1
        .value_kind:     by_value
    .group_segment_fixed_size: 0
    .kernarg_segment_align: 8
    .kernarg_segment_size: 84
    .language:       OpenCL C
    .language_version:
      - 2
      - 0
    .max_flat_workgroup_size: 1024
    .name:           _ZN9rocsparseL23csr2csr_compress_kernelILi1024ELi256ELi4ELi64EfEEvii21rocsparse_index_base_PKT3_PKiS6_iS1_PS2_S6_PiNS_24const_host_device_scalarIS2_EEb
    .private_segment_fixed_size: 0
    .sgpr_count:     15
    .sgpr_spill_count: 0
    .symbol:         _ZN9rocsparseL23csr2csr_compress_kernelILi1024ELi256ELi4ELi64EfEEvii21rocsparse_index_base_PKT3_PKiS6_iS1_PS2_S6_PiNS_24const_host_device_scalarIS2_EEb.kd
    .uniform_work_group_size: 1
    .uses_dynamic_stack: false
    .vgpr_count:     14
    .vgpr_spill_count: 0
    .wavefront_size: 32
  - .args:
      - .offset:         0
        .size:           4
        .value_kind:     by_value
      - .offset:         4
        .size:           4
        .value_kind:     by_value
      - .offset:         8
        .size:           4
        .value_kind:     by_value
      - .actual_access:  read_only
        .address_space:  global
        .offset:         16
        .size:           8
        .value_kind:     global_buffer
      - .actual_access:  read_only
        .address_space:  global
        .offset:         24
        .size:           8
        .value_kind:     global_buffer
      - .actual_access:  read_only
        .address_space:  global
        .offset:         32
        .size:           8
        .value_kind:     global_buffer
      - .offset:         40
        .size:           4
        .value_kind:     by_value
      - .offset:         44
        .size:           4
        .value_kind:     by_value
      - .actual_access:  write_only
        .address_space:  global
        .offset:         48
        .size:           8
        .value_kind:     global_buffer
      - .actual_access:  read_only
        .address_space:  global
        .offset:         56
        .size:           8
        .value_kind:     global_buffer
      - .actual_access:  write_only
        .address_space:  global
        .offset:         64
        .size:           8
        .value_kind:     global_buffer
      - .offset:         72
        .size:           8
        .value_kind:     by_value
      - .offset:         80
        .size:           1
        .value_kind:     by_value
    .group_segment_fixed_size: 0
    .kernarg_segment_align: 8
    .kernarg_segment_size: 84
    .language:       OpenCL C
    .language_version:
      - 2
      - 0
    .max_flat_workgroup_size: 1024
    .name:           _ZN9rocsparseL23csr2csr_compress_kernelILi1024ELi128ELi8ELi64EfEEvii21rocsparse_index_base_PKT3_PKiS6_iS1_PS2_S6_PiNS_24const_host_device_scalarIS2_EEb
    .private_segment_fixed_size: 0
    .sgpr_count:     15
    .sgpr_spill_count: 0
    .symbol:         _ZN9rocsparseL23csr2csr_compress_kernelILi1024ELi128ELi8ELi64EfEEvii21rocsparse_index_base_PKT3_PKiS6_iS1_PS2_S6_PiNS_24const_host_device_scalarIS2_EEb.kd
    .uniform_work_group_size: 1
    .uses_dynamic_stack: false
    .vgpr_count:     14
    .vgpr_spill_count: 0
    .wavefront_size: 32
  - .args:
      - .offset:         0
        .size:           4
        .value_kind:     by_value
      - .offset:         4
        .size:           4
        .value_kind:     by_value
      - .offset:         8
        .size:           4
        .value_kind:     by_value
      - .actual_access:  read_only
        .address_space:  global
        .offset:         16
        .size:           8
        .value_kind:     global_buffer
      - .actual_access:  read_only
        .address_space:  global
        .offset:         24
        .size:           8
        .value_kind:     global_buffer
      - .actual_access:  read_only
        .address_space:  global
        .offset:         32
        .size:           8
        .value_kind:     global_buffer
      - .offset:         40
        .size:           4
        .value_kind:     by_value
      - .offset:         44
        .size:           4
        .value_kind:     by_value
      - .actual_access:  write_only
        .address_space:  global
        .offset:         48
        .size:           8
        .value_kind:     global_buffer
      - .actual_access:  read_only
        .address_space:  global
        .offset:         56
        .size:           8
        .value_kind:     global_buffer
      - .actual_access:  write_only
        .address_space:  global
        .offset:         64
        .size:           8
        .value_kind:     global_buffer
      - .offset:         72
        .size:           8
        .value_kind:     by_value
      - .offset:         80
        .size:           1
        .value_kind:     by_value
    .group_segment_fixed_size: 0
    .kernarg_segment_align: 8
    .kernarg_segment_size: 84
    .language:       OpenCL C
    .language_version:
      - 2
      - 0
    .max_flat_workgroup_size: 1024
    .name:           _ZN9rocsparseL23csr2csr_compress_kernelILi1024ELi64ELi16ELi64EfEEvii21rocsparse_index_base_PKT3_PKiS6_iS1_PS2_S6_PiNS_24const_host_device_scalarIS2_EEb
    .private_segment_fixed_size: 0
    .sgpr_count:     15
    .sgpr_spill_count: 0
    .symbol:         _ZN9rocsparseL23csr2csr_compress_kernelILi1024ELi64ELi16ELi64EfEEvii21rocsparse_index_base_PKT3_PKiS6_iS1_PS2_S6_PiNS_24const_host_device_scalarIS2_EEb.kd
    .uniform_work_group_size: 1
    .uses_dynamic_stack: false
    .vgpr_count:     14
    .vgpr_spill_count: 0
    .wavefront_size: 32
  - .args:
      - .offset:         0
        .size:           4
        .value_kind:     by_value
      - .offset:         4
        .size:           4
        .value_kind:     by_value
      - .offset:         8
        .size:           4
        .value_kind:     by_value
      - .actual_access:  read_only
        .address_space:  global
        .offset:         16
        .size:           8
        .value_kind:     global_buffer
      - .actual_access:  read_only
        .address_space:  global
        .offset:         24
        .size:           8
        .value_kind:     global_buffer
      - .actual_access:  read_only
        .address_space:  global
        .offset:         32
        .size:           8
        .value_kind:     global_buffer
      - .offset:         40
        .size:           4
        .value_kind:     by_value
      - .offset:         44
        .size:           4
        .value_kind:     by_value
      - .actual_access:  write_only
        .address_space:  global
        .offset:         48
        .size:           8
        .value_kind:     global_buffer
      - .actual_access:  read_only
        .address_space:  global
        .offset:         56
        .size:           8
        .value_kind:     global_buffer
      - .actual_access:  write_only
        .address_space:  global
        .offset:         64
        .size:           8
        .value_kind:     global_buffer
      - .offset:         72
        .size:           8
        .value_kind:     by_value
      - .offset:         80
        .size:           1
        .value_kind:     by_value
    .group_segment_fixed_size: 0
    .kernarg_segment_align: 8
    .kernarg_segment_size: 84
    .language:       OpenCL C
    .language_version:
      - 2
      - 0
    .max_flat_workgroup_size: 1024
    .name:           _ZN9rocsparseL23csr2csr_compress_kernelILi1024ELi32ELi32ELi64EfEEvii21rocsparse_index_base_PKT3_PKiS6_iS1_PS2_S6_PiNS_24const_host_device_scalarIS2_EEb
    .private_segment_fixed_size: 0
    .sgpr_count:     15
    .sgpr_spill_count: 0
    .symbol:         _ZN9rocsparseL23csr2csr_compress_kernelILi1024ELi32ELi32ELi64EfEEvii21rocsparse_index_base_PKT3_PKiS6_iS1_PS2_S6_PiNS_24const_host_device_scalarIS2_EEb.kd
    .uniform_work_group_size: 1
    .uses_dynamic_stack: false
    .vgpr_count:     14
    .vgpr_spill_count: 0
    .wavefront_size: 32
  - .args:
      - .offset:         0
        .size:           4
        .value_kind:     by_value
      - .offset:         4
        .size:           4
        .value_kind:     by_value
      - .offset:         8
        .size:           4
        .value_kind:     by_value
      - .actual_access:  read_only
        .address_space:  global
        .offset:         16
        .size:           8
        .value_kind:     global_buffer
      - .actual_access:  read_only
        .address_space:  global
        .offset:         24
        .size:           8
        .value_kind:     global_buffer
      - .actual_access:  read_only
        .address_space:  global
        .offset:         32
        .size:           8
        .value_kind:     global_buffer
      - .offset:         40
        .size:           4
        .value_kind:     by_value
      - .offset:         44
        .size:           4
        .value_kind:     by_value
      - .actual_access:  write_only
        .address_space:  global
        .offset:         48
        .size:           8
        .value_kind:     global_buffer
      - .actual_access:  read_only
        .address_space:  global
        .offset:         56
        .size:           8
        .value_kind:     global_buffer
      - .actual_access:  write_only
        .address_space:  global
        .offset:         64
        .size:           8
        .value_kind:     global_buffer
      - .offset:         72
        .size:           8
        .value_kind:     by_value
      - .offset:         80
        .size:           1
        .value_kind:     by_value
    .group_segment_fixed_size: 0
    .kernarg_segment_align: 8
    .kernarg_segment_size: 84
    .language:       OpenCL C
    .language_version:
      - 2
      - 0
    .max_flat_workgroup_size: 1024
    .name:           _ZN9rocsparseL23csr2csr_compress_kernelILi1024ELi16ELi64ELi64EfEEvii21rocsparse_index_base_PKT3_PKiS6_iS1_PS2_S6_PiNS_24const_host_device_scalarIS2_EEb
    .private_segment_fixed_size: 0
    .sgpr_count:     15
    .sgpr_spill_count: 0
    .symbol:         _ZN9rocsparseL23csr2csr_compress_kernelILi1024ELi16ELi64ELi64EfEEvii21rocsparse_index_base_PKT3_PKiS6_iS1_PS2_S6_PiNS_24const_host_device_scalarIS2_EEb.kd
    .uniform_work_group_size: 1
    .uses_dynamic_stack: false
    .vgpr_count:     14
    .vgpr_spill_count: 0
    .wavefront_size: 32
  - .args:
      - .offset:         0
        .size:           4
        .value_kind:     by_value
      - .offset:         4
        .size:           4
        .value_kind:     by_value
      - .offset:         8
        .size:           4
        .value_kind:     by_value
      - .actual_access:  read_only
        .address_space:  global
        .offset:         16
        .size:           8
        .value_kind:     global_buffer
      - .actual_access:  read_only
        .address_space:  global
        .offset:         24
        .size:           8
        .value_kind:     global_buffer
      - .actual_access:  read_only
        .address_space:  global
        .offset:         32
        .size:           8
        .value_kind:     global_buffer
      - .offset:         40
        .size:           4
        .value_kind:     by_value
      - .offset:         44
        .size:           4
        .value_kind:     by_value
      - .actual_access:  write_only
        .address_space:  global
        .offset:         48
        .size:           8
        .value_kind:     global_buffer
      - .actual_access:  read_only
        .address_space:  global
        .offset:         56
        .size:           8
        .value_kind:     global_buffer
      - .actual_access:  write_only
        .address_space:  global
        .offset:         64
        .size:           8
        .value_kind:     global_buffer
      - .offset:         72
        .size:           8
        .value_kind:     by_value
      - .offset:         80
        .size:           1
        .value_kind:     by_value
    .group_segment_fixed_size: 0
    .kernarg_segment_align: 8
    .kernarg_segment_size: 84
    .language:       OpenCL C
    .language_version:
      - 2
      - 0
    .max_flat_workgroup_size: 1024
    .name:           _ZN9rocsparseL23csr2csr_compress_kernelILi1024ELi512ELi2ELi32EdEEvii21rocsparse_index_base_PKT3_PKiS6_iS1_PS2_S6_PiNS_24const_host_device_scalarIS2_EEb
    .private_segment_fixed_size: 0
    .sgpr_count:     14
    .sgpr_spill_count: 0
    .symbol:         _ZN9rocsparseL23csr2csr_compress_kernelILi1024ELi512ELi2ELi32EdEEvii21rocsparse_index_base_PKT3_PKiS6_iS1_PS2_S6_PiNS_24const_host_device_scalarIS2_EEb.kd
    .uniform_work_group_size: 1
    .uses_dynamic_stack: false
    .vgpr_count:     18
    .vgpr_spill_count: 0
    .wavefront_size: 32
  - .args:
      - .offset:         0
        .size:           4
        .value_kind:     by_value
      - .offset:         4
        .size:           4
        .value_kind:     by_value
      - .offset:         8
        .size:           4
        .value_kind:     by_value
      - .actual_access:  read_only
        .address_space:  global
        .offset:         16
        .size:           8
        .value_kind:     global_buffer
      - .actual_access:  read_only
        .address_space:  global
        .offset:         24
        .size:           8
        .value_kind:     global_buffer
      - .actual_access:  read_only
        .address_space:  global
        .offset:         32
        .size:           8
        .value_kind:     global_buffer
      - .offset:         40
        .size:           4
        .value_kind:     by_value
      - .offset:         44
        .size:           4
        .value_kind:     by_value
      - .actual_access:  write_only
        .address_space:  global
        .offset:         48
        .size:           8
        .value_kind:     global_buffer
      - .actual_access:  read_only
        .address_space:  global
        .offset:         56
        .size:           8
        .value_kind:     global_buffer
      - .actual_access:  write_only
        .address_space:  global
        .offset:         64
        .size:           8
        .value_kind:     global_buffer
      - .offset:         72
        .size:           8
        .value_kind:     by_value
      - .offset:         80
        .size:           1
        .value_kind:     by_value
    .group_segment_fixed_size: 0
    .kernarg_segment_align: 8
    .kernarg_segment_size: 84
    .language:       OpenCL C
    .language_version:
      - 2
      - 0
    .max_flat_workgroup_size: 1024
    .name:           _ZN9rocsparseL23csr2csr_compress_kernelILi1024ELi256ELi4ELi32EdEEvii21rocsparse_index_base_PKT3_PKiS6_iS1_PS2_S6_PiNS_24const_host_device_scalarIS2_EEb
    .private_segment_fixed_size: 0
    .sgpr_count:     14
    .sgpr_spill_count: 0
    .symbol:         _ZN9rocsparseL23csr2csr_compress_kernelILi1024ELi256ELi4ELi32EdEEvii21rocsparse_index_base_PKT3_PKiS6_iS1_PS2_S6_PiNS_24const_host_device_scalarIS2_EEb.kd
    .uniform_work_group_size: 1
    .uses_dynamic_stack: false
    .vgpr_count:     18
    .vgpr_spill_count: 0
    .wavefront_size: 32
  - .args:
      - .offset:         0
        .size:           4
        .value_kind:     by_value
      - .offset:         4
        .size:           4
        .value_kind:     by_value
      - .offset:         8
        .size:           4
        .value_kind:     by_value
      - .actual_access:  read_only
        .address_space:  global
        .offset:         16
        .size:           8
        .value_kind:     global_buffer
      - .actual_access:  read_only
        .address_space:  global
        .offset:         24
        .size:           8
        .value_kind:     global_buffer
      - .actual_access:  read_only
        .address_space:  global
        .offset:         32
        .size:           8
        .value_kind:     global_buffer
      - .offset:         40
        .size:           4
        .value_kind:     by_value
      - .offset:         44
        .size:           4
        .value_kind:     by_value
      - .actual_access:  write_only
        .address_space:  global
        .offset:         48
        .size:           8
        .value_kind:     global_buffer
      - .actual_access:  read_only
        .address_space:  global
        .offset:         56
        .size:           8
        .value_kind:     global_buffer
      - .actual_access:  write_only
        .address_space:  global
        .offset:         64
        .size:           8
        .value_kind:     global_buffer
      - .offset:         72
        .size:           8
        .value_kind:     by_value
      - .offset:         80
        .size:           1
        .value_kind:     by_value
    .group_segment_fixed_size: 0
    .kernarg_segment_align: 8
    .kernarg_segment_size: 84
    .language:       OpenCL C
    .language_version:
      - 2
      - 0
    .max_flat_workgroup_size: 1024
    .name:           _ZN9rocsparseL23csr2csr_compress_kernelILi1024ELi128ELi8ELi32EdEEvii21rocsparse_index_base_PKT3_PKiS6_iS1_PS2_S6_PiNS_24const_host_device_scalarIS2_EEb
    .private_segment_fixed_size: 0
    .sgpr_count:     14
    .sgpr_spill_count: 0
    .symbol:         _ZN9rocsparseL23csr2csr_compress_kernelILi1024ELi128ELi8ELi32EdEEvii21rocsparse_index_base_PKT3_PKiS6_iS1_PS2_S6_PiNS_24const_host_device_scalarIS2_EEb.kd
    .uniform_work_group_size: 1
    .uses_dynamic_stack: false
    .vgpr_count:     18
    .vgpr_spill_count: 0
    .wavefront_size: 32
  - .args:
      - .offset:         0
        .size:           4
        .value_kind:     by_value
      - .offset:         4
        .size:           4
        .value_kind:     by_value
      - .offset:         8
        .size:           4
        .value_kind:     by_value
      - .actual_access:  read_only
        .address_space:  global
        .offset:         16
        .size:           8
        .value_kind:     global_buffer
      - .actual_access:  read_only
        .address_space:  global
        .offset:         24
        .size:           8
        .value_kind:     global_buffer
      - .actual_access:  read_only
        .address_space:  global
        .offset:         32
        .size:           8
        .value_kind:     global_buffer
      - .offset:         40
        .size:           4
        .value_kind:     by_value
      - .offset:         44
        .size:           4
        .value_kind:     by_value
      - .actual_access:  write_only
        .address_space:  global
        .offset:         48
        .size:           8
        .value_kind:     global_buffer
      - .actual_access:  read_only
        .address_space:  global
        .offset:         56
        .size:           8
        .value_kind:     global_buffer
      - .actual_access:  write_only
        .address_space:  global
        .offset:         64
        .size:           8
        .value_kind:     global_buffer
      - .offset:         72
        .size:           8
        .value_kind:     by_value
      - .offset:         80
        .size:           1
        .value_kind:     by_value
    .group_segment_fixed_size: 0
    .kernarg_segment_align: 8
    .kernarg_segment_size: 84
    .language:       OpenCL C
    .language_version:
      - 2
      - 0
    .max_flat_workgroup_size: 1024
    .name:           _ZN9rocsparseL23csr2csr_compress_kernelILi1024ELi64ELi16ELi32EdEEvii21rocsparse_index_base_PKT3_PKiS6_iS1_PS2_S6_PiNS_24const_host_device_scalarIS2_EEb
    .private_segment_fixed_size: 0
    .sgpr_count:     14
    .sgpr_spill_count: 0
    .symbol:         _ZN9rocsparseL23csr2csr_compress_kernelILi1024ELi64ELi16ELi32EdEEvii21rocsparse_index_base_PKT3_PKiS6_iS1_PS2_S6_PiNS_24const_host_device_scalarIS2_EEb.kd
    .uniform_work_group_size: 1
    .uses_dynamic_stack: false
    .vgpr_count:     18
    .vgpr_spill_count: 0
    .wavefront_size: 32
  - .args:
      - .offset:         0
        .size:           4
        .value_kind:     by_value
      - .offset:         4
        .size:           4
        .value_kind:     by_value
      - .offset:         8
        .size:           4
        .value_kind:     by_value
      - .actual_access:  read_only
        .address_space:  global
        .offset:         16
        .size:           8
        .value_kind:     global_buffer
      - .actual_access:  read_only
        .address_space:  global
        .offset:         24
        .size:           8
        .value_kind:     global_buffer
      - .actual_access:  read_only
        .address_space:  global
        .offset:         32
        .size:           8
        .value_kind:     global_buffer
      - .offset:         40
        .size:           4
        .value_kind:     by_value
      - .offset:         44
        .size:           4
        .value_kind:     by_value
      - .actual_access:  write_only
        .address_space:  global
        .offset:         48
        .size:           8
        .value_kind:     global_buffer
      - .actual_access:  read_only
        .address_space:  global
        .offset:         56
        .size:           8
        .value_kind:     global_buffer
      - .actual_access:  write_only
        .address_space:  global
        .offset:         64
        .size:           8
        .value_kind:     global_buffer
      - .offset:         72
        .size:           8
        .value_kind:     by_value
      - .offset:         80
        .size:           1
        .value_kind:     by_value
    .group_segment_fixed_size: 0
    .kernarg_segment_align: 8
    .kernarg_segment_size: 84
    .language:       OpenCL C
    .language_version:
      - 2
      - 0
    .max_flat_workgroup_size: 1024
    .name:           _ZN9rocsparseL23csr2csr_compress_kernelILi1024ELi32ELi32ELi32EdEEvii21rocsparse_index_base_PKT3_PKiS6_iS1_PS2_S6_PiNS_24const_host_device_scalarIS2_EEb
    .private_segment_fixed_size: 0
    .sgpr_count:     14
    .sgpr_spill_count: 0
    .symbol:         _ZN9rocsparseL23csr2csr_compress_kernelILi1024ELi32ELi32ELi32EdEEvii21rocsparse_index_base_PKT3_PKiS6_iS1_PS2_S6_PiNS_24const_host_device_scalarIS2_EEb.kd
    .uniform_work_group_size: 1
    .uses_dynamic_stack: false
    .vgpr_count:     18
    .vgpr_spill_count: 0
    .wavefront_size: 32
  - .args:
      - .offset:         0
        .size:           4
        .value_kind:     by_value
      - .offset:         4
        .size:           4
        .value_kind:     by_value
      - .offset:         8
        .size:           4
        .value_kind:     by_value
      - .actual_access:  read_only
        .address_space:  global
        .offset:         16
        .size:           8
        .value_kind:     global_buffer
      - .actual_access:  read_only
        .address_space:  global
        .offset:         24
        .size:           8
        .value_kind:     global_buffer
      - .actual_access:  read_only
        .address_space:  global
        .offset:         32
        .size:           8
        .value_kind:     global_buffer
      - .offset:         40
        .size:           4
        .value_kind:     by_value
      - .offset:         44
        .size:           4
        .value_kind:     by_value
      - .actual_access:  write_only
        .address_space:  global
        .offset:         48
        .size:           8
        .value_kind:     global_buffer
      - .actual_access:  read_only
        .address_space:  global
        .offset:         56
        .size:           8
        .value_kind:     global_buffer
      - .actual_access:  write_only
        .address_space:  global
        .offset:         64
        .size:           8
        .value_kind:     global_buffer
      - .offset:         72
        .size:           8
        .value_kind:     by_value
      - .offset:         80
        .size:           1
        .value_kind:     by_value
    .group_segment_fixed_size: 0
    .kernarg_segment_align: 8
    .kernarg_segment_size: 84
    .language:       OpenCL C
    .language_version:
      - 2
      - 0
    .max_flat_workgroup_size: 1024
    .name:           _ZN9rocsparseL23csr2csr_compress_kernelILi1024ELi512ELi2ELi64EdEEvii21rocsparse_index_base_PKT3_PKiS6_iS1_PS2_S6_PiNS_24const_host_device_scalarIS2_EEb
    .private_segment_fixed_size: 0
    .sgpr_count:     14
    .sgpr_spill_count: 0
    .symbol:         _ZN9rocsparseL23csr2csr_compress_kernelILi1024ELi512ELi2ELi64EdEEvii21rocsparse_index_base_PKT3_PKiS6_iS1_PS2_S6_PiNS_24const_host_device_scalarIS2_EEb.kd
    .uniform_work_group_size: 1
    .uses_dynamic_stack: false
    .vgpr_count:     18
    .vgpr_spill_count: 0
    .wavefront_size: 32
  - .args:
      - .offset:         0
        .size:           4
        .value_kind:     by_value
      - .offset:         4
        .size:           4
        .value_kind:     by_value
      - .offset:         8
        .size:           4
        .value_kind:     by_value
      - .actual_access:  read_only
        .address_space:  global
        .offset:         16
        .size:           8
        .value_kind:     global_buffer
      - .actual_access:  read_only
        .address_space:  global
        .offset:         24
        .size:           8
        .value_kind:     global_buffer
      - .actual_access:  read_only
        .address_space:  global
        .offset:         32
        .size:           8
        .value_kind:     global_buffer
      - .offset:         40
        .size:           4
        .value_kind:     by_value
      - .offset:         44
        .size:           4
        .value_kind:     by_value
      - .actual_access:  write_only
        .address_space:  global
        .offset:         48
        .size:           8
        .value_kind:     global_buffer
      - .actual_access:  read_only
        .address_space:  global
        .offset:         56
        .size:           8
        .value_kind:     global_buffer
      - .actual_access:  write_only
        .address_space:  global
        .offset:         64
        .size:           8
        .value_kind:     global_buffer
      - .offset:         72
        .size:           8
        .value_kind:     by_value
      - .offset:         80
        .size:           1
        .value_kind:     by_value
    .group_segment_fixed_size: 0
    .kernarg_segment_align: 8
    .kernarg_segment_size: 84
    .language:       OpenCL C
    .language_version:
      - 2
      - 0
    .max_flat_workgroup_size: 1024
    .name:           _ZN9rocsparseL23csr2csr_compress_kernelILi1024ELi256ELi4ELi64EdEEvii21rocsparse_index_base_PKT3_PKiS6_iS1_PS2_S6_PiNS_24const_host_device_scalarIS2_EEb
    .private_segment_fixed_size: 0
    .sgpr_count:     14
    .sgpr_spill_count: 0
    .symbol:         _ZN9rocsparseL23csr2csr_compress_kernelILi1024ELi256ELi4ELi64EdEEvii21rocsparse_index_base_PKT3_PKiS6_iS1_PS2_S6_PiNS_24const_host_device_scalarIS2_EEb.kd
    .uniform_work_group_size: 1
    .uses_dynamic_stack: false
    .vgpr_count:     18
    .vgpr_spill_count: 0
    .wavefront_size: 32
  - .args:
      - .offset:         0
        .size:           4
        .value_kind:     by_value
      - .offset:         4
        .size:           4
        .value_kind:     by_value
      - .offset:         8
        .size:           4
        .value_kind:     by_value
      - .actual_access:  read_only
        .address_space:  global
        .offset:         16
        .size:           8
        .value_kind:     global_buffer
      - .actual_access:  read_only
        .address_space:  global
        .offset:         24
        .size:           8
        .value_kind:     global_buffer
      - .actual_access:  read_only
        .address_space:  global
        .offset:         32
        .size:           8
        .value_kind:     global_buffer
      - .offset:         40
        .size:           4
        .value_kind:     by_value
      - .offset:         44
        .size:           4
        .value_kind:     by_value
      - .actual_access:  write_only
        .address_space:  global
        .offset:         48
        .size:           8
        .value_kind:     global_buffer
      - .actual_access:  read_only
        .address_space:  global
        .offset:         56
        .size:           8
        .value_kind:     global_buffer
      - .actual_access:  write_only
        .address_space:  global
        .offset:         64
        .size:           8
        .value_kind:     global_buffer
      - .offset:         72
        .size:           8
        .value_kind:     by_value
      - .offset:         80
        .size:           1
        .value_kind:     by_value
    .group_segment_fixed_size: 0
    .kernarg_segment_align: 8
    .kernarg_segment_size: 84
    .language:       OpenCL C
    .language_version:
      - 2
      - 0
    .max_flat_workgroup_size: 1024
    .name:           _ZN9rocsparseL23csr2csr_compress_kernelILi1024ELi128ELi8ELi64EdEEvii21rocsparse_index_base_PKT3_PKiS6_iS1_PS2_S6_PiNS_24const_host_device_scalarIS2_EEb
    .private_segment_fixed_size: 0
    .sgpr_count:     14
    .sgpr_spill_count: 0
    .symbol:         _ZN9rocsparseL23csr2csr_compress_kernelILi1024ELi128ELi8ELi64EdEEvii21rocsparse_index_base_PKT3_PKiS6_iS1_PS2_S6_PiNS_24const_host_device_scalarIS2_EEb.kd
    .uniform_work_group_size: 1
    .uses_dynamic_stack: false
    .vgpr_count:     18
    .vgpr_spill_count: 0
    .wavefront_size: 32
  - .args:
      - .offset:         0
        .size:           4
        .value_kind:     by_value
      - .offset:         4
        .size:           4
        .value_kind:     by_value
      - .offset:         8
        .size:           4
        .value_kind:     by_value
      - .actual_access:  read_only
        .address_space:  global
        .offset:         16
        .size:           8
        .value_kind:     global_buffer
      - .actual_access:  read_only
        .address_space:  global
        .offset:         24
        .size:           8
        .value_kind:     global_buffer
      - .actual_access:  read_only
        .address_space:  global
        .offset:         32
        .size:           8
        .value_kind:     global_buffer
      - .offset:         40
        .size:           4
        .value_kind:     by_value
      - .offset:         44
        .size:           4
        .value_kind:     by_value
      - .actual_access:  write_only
        .address_space:  global
        .offset:         48
        .size:           8
        .value_kind:     global_buffer
      - .actual_access:  read_only
        .address_space:  global
        .offset:         56
        .size:           8
        .value_kind:     global_buffer
      - .actual_access:  write_only
        .address_space:  global
        .offset:         64
        .size:           8
        .value_kind:     global_buffer
      - .offset:         72
        .size:           8
        .value_kind:     by_value
      - .offset:         80
        .size:           1
        .value_kind:     by_value
    .group_segment_fixed_size: 0
    .kernarg_segment_align: 8
    .kernarg_segment_size: 84
    .language:       OpenCL C
    .language_version:
      - 2
      - 0
    .max_flat_workgroup_size: 1024
    .name:           _ZN9rocsparseL23csr2csr_compress_kernelILi1024ELi64ELi16ELi64EdEEvii21rocsparse_index_base_PKT3_PKiS6_iS1_PS2_S6_PiNS_24const_host_device_scalarIS2_EEb
    .private_segment_fixed_size: 0
    .sgpr_count:     14
    .sgpr_spill_count: 0
    .symbol:         _ZN9rocsparseL23csr2csr_compress_kernelILi1024ELi64ELi16ELi64EdEEvii21rocsparse_index_base_PKT3_PKiS6_iS1_PS2_S6_PiNS_24const_host_device_scalarIS2_EEb.kd
    .uniform_work_group_size: 1
    .uses_dynamic_stack: false
    .vgpr_count:     18
    .vgpr_spill_count: 0
    .wavefront_size: 32
  - .args:
      - .offset:         0
        .size:           4
        .value_kind:     by_value
      - .offset:         4
        .size:           4
        .value_kind:     by_value
      - .offset:         8
        .size:           4
        .value_kind:     by_value
      - .actual_access:  read_only
        .address_space:  global
        .offset:         16
        .size:           8
        .value_kind:     global_buffer
      - .actual_access:  read_only
        .address_space:  global
        .offset:         24
        .size:           8
        .value_kind:     global_buffer
      - .actual_access:  read_only
        .address_space:  global
        .offset:         32
        .size:           8
        .value_kind:     global_buffer
      - .offset:         40
        .size:           4
        .value_kind:     by_value
      - .offset:         44
        .size:           4
        .value_kind:     by_value
      - .actual_access:  write_only
        .address_space:  global
        .offset:         48
        .size:           8
        .value_kind:     global_buffer
      - .actual_access:  read_only
        .address_space:  global
        .offset:         56
        .size:           8
        .value_kind:     global_buffer
      - .actual_access:  write_only
        .address_space:  global
        .offset:         64
        .size:           8
        .value_kind:     global_buffer
      - .offset:         72
        .size:           8
        .value_kind:     by_value
      - .offset:         80
        .size:           1
        .value_kind:     by_value
    .group_segment_fixed_size: 0
    .kernarg_segment_align: 8
    .kernarg_segment_size: 84
    .language:       OpenCL C
    .language_version:
      - 2
      - 0
    .max_flat_workgroup_size: 1024
    .name:           _ZN9rocsparseL23csr2csr_compress_kernelILi1024ELi32ELi32ELi64EdEEvii21rocsparse_index_base_PKT3_PKiS6_iS1_PS2_S6_PiNS_24const_host_device_scalarIS2_EEb
    .private_segment_fixed_size: 0
    .sgpr_count:     14
    .sgpr_spill_count: 0
    .symbol:         _ZN9rocsparseL23csr2csr_compress_kernelILi1024ELi32ELi32ELi64EdEEvii21rocsparse_index_base_PKT3_PKiS6_iS1_PS2_S6_PiNS_24const_host_device_scalarIS2_EEb.kd
    .uniform_work_group_size: 1
    .uses_dynamic_stack: false
    .vgpr_count:     18
    .vgpr_spill_count: 0
    .wavefront_size: 32
  - .args:
      - .offset:         0
        .size:           4
        .value_kind:     by_value
      - .offset:         4
        .size:           4
        .value_kind:     by_value
      - .offset:         8
        .size:           4
        .value_kind:     by_value
      - .actual_access:  read_only
        .address_space:  global
        .offset:         16
        .size:           8
        .value_kind:     global_buffer
      - .actual_access:  read_only
        .address_space:  global
        .offset:         24
        .size:           8
        .value_kind:     global_buffer
      - .actual_access:  read_only
        .address_space:  global
        .offset:         32
        .size:           8
        .value_kind:     global_buffer
      - .offset:         40
        .size:           4
        .value_kind:     by_value
      - .offset:         44
        .size:           4
        .value_kind:     by_value
      - .actual_access:  write_only
        .address_space:  global
        .offset:         48
        .size:           8
        .value_kind:     global_buffer
      - .actual_access:  read_only
        .address_space:  global
        .offset:         56
        .size:           8
        .value_kind:     global_buffer
      - .actual_access:  write_only
        .address_space:  global
        .offset:         64
        .size:           8
        .value_kind:     global_buffer
      - .offset:         72
        .size:           8
        .value_kind:     by_value
      - .offset:         80
        .size:           1
        .value_kind:     by_value
    .group_segment_fixed_size: 0
    .kernarg_segment_align: 8
    .kernarg_segment_size: 84
    .language:       OpenCL C
    .language_version:
      - 2
      - 0
    .max_flat_workgroup_size: 1024
    .name:           _ZN9rocsparseL23csr2csr_compress_kernelILi1024ELi16ELi64ELi64EdEEvii21rocsparse_index_base_PKT3_PKiS6_iS1_PS2_S6_PiNS_24const_host_device_scalarIS2_EEb
    .private_segment_fixed_size: 0
    .sgpr_count:     14
    .sgpr_spill_count: 0
    .symbol:         _ZN9rocsparseL23csr2csr_compress_kernelILi1024ELi16ELi64ELi64EdEEvii21rocsparse_index_base_PKT3_PKiS6_iS1_PS2_S6_PiNS_24const_host_device_scalarIS2_EEb.kd
    .uniform_work_group_size: 1
    .uses_dynamic_stack: false
    .vgpr_count:     18
    .vgpr_spill_count: 0
    .wavefront_size: 32
amdhsa.target:   amdgcn-amd-amdhsa--gfx1250
amdhsa.version:
  - 1
  - 2
...

	.end_amdgpu_metadata
